;; amdgpu-corpus repo=ROCm/rocFFT kind=compiled arch=gfx1201 opt=O3
	.text
	.amdgcn_target "amdgcn-amd-amdhsa--gfx1201"
	.amdhsa_code_object_version 6
	.protected	bluestein_single_fwd_len90_dim1_half_op_CI_CI ; -- Begin function bluestein_single_fwd_len90_dim1_half_op_CI_CI
	.globl	bluestein_single_fwd_len90_dim1_half_op_CI_CI
	.p2align	8
	.type	bluestein_single_fwd_len90_dim1_half_op_CI_CI,@function
bluestein_single_fwd_len90_dim1_half_op_CI_CI: ; @bluestein_single_fwd_len90_dim1_half_op_CI_CI
; %bb.0:
	s_load_b128 s[8:11], s[0:1], 0x28
	v_mul_u32_u24_e32 v1, 0x1c72, v0
	s_mov_b32 s2, exec_lo
	s_delay_alu instid0(VALU_DEP_1) | instskip(NEXT) | instid1(VALU_DEP_1)
	v_lshrrev_b32_e32 v1, 16, v1
	v_mad_co_u64_u32 v[10:11], null, ttmp9, 7, v[1:2]
	v_mov_b32_e32 v11, 0
                                        ; kill: def $vgpr2 killed $sgpr0 killed $exec
	s_wait_kmcnt 0x0
	s_delay_alu instid0(VALU_DEP_1)
	v_cmpx_gt_u64_e64 s[8:9], v[10:11]
	s_cbranch_execz .LBB0_23
; %bb.1:
	s_clause 0x1
	s_load_b128 s[4:7], s[0:1], 0x18
	s_load_b64 s[16:17], s[0:1], 0x0
	v_mul_lo_u16 v1, v1, 9
	s_movk_i32 s2, 0xffcd
	s_mov_b32 s3, -1
	s_delay_alu instid0(VALU_DEP_1) | instskip(NEXT) | instid1(VALU_DEP_1)
	v_sub_nc_u16 v13, v0, v1
	v_and_b32_e32 v43, 0xffff, v13
	s_delay_alu instid0(VALU_DEP_1)
	v_or_b32_e32 v32, 48, v43
	s_wait_kmcnt 0x0
	s_load_b128 s[12:15], s[4:5], 0x0
	s_wait_kmcnt 0x0
	v_mad_co_u64_u32 v[0:1], null, s14, v10, 0
	v_mad_co_u64_u32 v[2:3], null, s12, v43, 0
	s_mul_u64 s[4:5], s[12:13], 30
	s_mul_u64 s[2:3], s[12:13], s[2:3]
	s_delay_alu instid0(SALU_CYCLE_1) | instskip(NEXT) | instid1(VALU_DEP_1)
	s_lshl_b64 s[2:3], s[2:3], 2
	v_mad_co_u64_u32 v[4:5], null, s15, v10, v[1:2]
	v_mad_co_u64_u32 v[5:6], null, s12, v32, 0
	s_lshl_b64 s[14:15], s[4:5], 2
	s_delay_alu instid0(VALU_DEP_2) | instskip(NEXT) | instid1(VALU_DEP_2)
	v_mad_co_u64_u32 v[7:8], null, s13, v43, v[3:4]
	v_dual_mov_b32 v1, v4 :: v_dual_mov_b32 v4, v6
	v_lshlrev_b32_e32 v14, 2, v43
	s_delay_alu instid0(VALU_DEP_2) | instskip(NEXT) | instid1(VALU_DEP_4)
	v_lshlrev_b64_e32 v[0:1], 2, v[0:1]
	v_mov_b32_e32 v3, v7
	s_delay_alu instid0(VALU_DEP_4)
	v_mad_co_u64_u32 v[6:7], null, s13, v32, v[4:5]
	s_clause 0x8
	global_load_b32 v50, v14, s[16:17]
	global_load_b32 v44, v14, s[16:17] offset:36
	global_load_b32 v41, v14, s[16:17] offset:156
	;; [unrolled: 1-line block ×8, first 2 shown]
	v_lshlrev_b64_e32 v[2:3], 2, v[2:3]
	v_add_co_u32 v8, vcc_lo, s10, v0
	v_add_co_ci_u32_e32 v9, vcc_lo, s11, v1, vcc_lo
	v_lshlrev_b64_e32 v[4:5], 2, v[5:6]
	s_delay_alu instid0(VALU_DEP_3) | instskip(SKIP_1) | instid1(VALU_DEP_3)
	v_add_co_u32 v0, vcc_lo, v8, v2
	s_wait_alu 0xfffd
	v_add_co_ci_u32_e32 v1, vcc_lo, v9, v3, vcc_lo
	s_wait_alu 0xfffe
	s_delay_alu instid0(VALU_DEP_2) | instskip(SKIP_1) | instid1(VALU_DEP_2)
	v_add_co_u32 v2, vcc_lo, v0, s14
	s_wait_alu 0xfffd
	v_add_co_ci_u32_e32 v3, vcc_lo, s15, v1, vcc_lo
	global_load_b32 v15, v[0:1], off
	v_add_co_u32 v6, vcc_lo, v2, s14
	s_wait_alu 0xfffd
	v_add_co_ci_u32_e32 v7, vcc_lo, s15, v3, vcc_lo
	v_add_co_u32 v4, vcc_lo, v8, v4
	s_wait_alu 0xfffd
	v_add_co_ci_u32_e32 v5, vcc_lo, v9, v5, vcc_lo
	;; [unrolled: 3-line block ×3, first 2 shown]
	s_clause 0x1
	global_load_b32 v16, v[4:5], off
	global_load_b32 v18, v[6:7], off
	v_add_co_u32 v11, vcc_lo, v8, s14
	s_wait_alu 0xfffd
	v_add_co_ci_u32_e32 v12, vcc_lo, s15, v9, vcc_lo
	global_load_b32 v17, v[2:3], off
	v_add_co_u32 v4, vcc_lo, v11, s14
	s_wait_alu 0xfffd
	v_add_co_ci_u32_e32 v5, vcc_lo, s15, v12, vcc_lo
	s_clause 0x1
	global_load_b32 v19, v[8:9], off
	global_load_b32 v11, v[11:12], off
	v_add_co_u32 v2, vcc_lo, v4, s2
	s_wait_alu 0xfffd
	v_add_co_ci_u32_e32 v3, vcc_lo, s3, v5, vcc_lo
	global_load_b32 v4, v[4:5], off
	v_mul_hi_u32 v5, 0x24924925, v10
	v_add_co_u32 v8, s10, s16, v14
	v_mad_co_u64_u32 v[0:1], null, 0xf0, s12, v[2:3]
	s_wait_alu 0xf1ff
	v_add_co_ci_u32_e64 v9, null, s17, 0, s10
	v_cmp_gt_u16_e32 vcc_lo, 3, v13
	s_delay_alu instid0(VALU_DEP_3) | instskip(NEXT) | instid1(VALU_DEP_1)
	v_mad_co_u64_u32 v[6:7], null, 0xf0, s13, v[1:2]
	v_mov_b32_e32 v1, v6
	global_load_b32 v2, v[2:3], off
	global_load_b32 v3, v[0:1], off
	v_sub_nc_u32_e32 v6, v10, v5
	s_load_b64 s[8:9], s[0:1], 0x38
	s_load_b128 s[4:7], s[6:7], 0x0
	s_delay_alu instid0(VALU_DEP_1) | instskip(NEXT) | instid1(VALU_DEP_1)
	v_lshrrev_b32_e32 v6, 1, v6
	v_add_nc_u32_e32 v5, v6, v5
	s_delay_alu instid0(VALU_DEP_1) | instskip(NEXT) | instid1(VALU_DEP_1)
	v_lshrrev_b32_e32 v5, 2, v5
	v_mul_lo_u32 v5, v5, 7
	s_delay_alu instid0(VALU_DEP_1) | instskip(NEXT) | instid1(VALU_DEP_1)
	v_sub_nc_u32_e32 v5, v10, v5
	v_mul_u32_u24_e32 v5, 0x5a, v5
	s_delay_alu instid0(VALU_DEP_1) | instskip(NEXT) | instid1(VALU_DEP_1)
	v_lshlrev_b32_e32 v52, 2, v5
	v_add_nc_u32_e32 v31, v14, v52
	s_wait_loadcnt 0x11
	v_lshrrev_b32_e32 v51, 16, v50
	s_wait_loadcnt 0x10
	v_lshrrev_b32_e32 v45, 16, v44
	;; [unrolled: 2-line block ×5, first 2 shown]
	v_lshrrev_b32_e32 v36, 16, v35
	v_lshrrev_b32_e32 v47, 16, v46
	s_wait_loadcnt 0xa
	v_lshrrev_b32_e32 v38, 16, v37
	s_wait_loadcnt 0x9
	;; [unrolled: 2-line block ×3, first 2 shown]
	v_lshrrev_b32_e32 v5, 16, v15
	v_mul_f16_e32 v6, v51, v15
	s_delay_alu instid0(VALU_DEP_2) | instskip(NEXT) | instid1(VALU_DEP_2)
	v_mul_f16_e32 v14, v51, v5
	v_fma_f16 v5, v50, v5, -v6
	s_delay_alu instid0(VALU_DEP_2)
	v_fmac_f16_e32 v14, v50, v15
	s_wait_loadcnt 0x7
	v_lshrrev_b32_e32 v7, 16, v16
	v_mul_f16_e32 v12, v36, v16
	s_wait_loadcnt 0x6
	v_lshrrev_b32_e32 v15, 16, v18
	v_pack_b32_f16 v5, v14, v5
	v_mul_f16_e32 v21, v36, v7
	s_wait_loadcnt 0x5
	v_lshrrev_b32_e32 v6, 16, v17
	v_mul_f16_e32 v20, v49, v17
	v_fma_f16 v7, v35, v7, -v12
	v_mul_f16_e32 v14, v47, v15
	v_fmac_f16_e32 v21, v35, v16
	v_mul_f16_e32 v12, v49, v6
	v_fma_f16 v6, v48, v6, -v20
	v_mul_f16_e32 v20, v47, v18
	s_wait_loadcnt 0x4
	v_lshrrev_b32_e32 v16, 16, v19
	v_fmac_f16_e32 v14, v46, v18
	v_fmac_f16_e32 v12, v48, v17
	s_wait_loadcnt 0x3
	v_lshrrev_b32_e32 v18, 16, v11
	v_fma_f16 v15, v46, v15, -v20
	v_mul_f16_e32 v17, v45, v19
	v_mul_f16_e32 v20, v42, v11
	v_pack_b32_f16 v6, v12, v6
	v_mul_f16_e32 v12, v45, v16
	v_pack_b32_f16 v14, v14, v15
	v_mul_f16_e32 v15, v42, v18
	v_fma_f16 v16, v44, v16, -v17
	v_fma_f16 v17, v41, v18, -v20
	v_fmac_f16_e32 v12, v44, v19
	s_wait_loadcnt 0x2
	v_lshrrev_b32_e32 v18, 16, v4
	v_mul_f16_e32 v19, v40, v4
	v_fmac_f16_e32 v15, v41, v11
	ds_store_b32 v31, v6 offset:120
	ds_store_b32 v31, v14 offset:240
	v_pack_b32_f16 v6, v12, v16
	v_mul_f16_e32 v12, v40, v18
	v_fma_f16 v18, v39, v18, -v19
	v_pack_b32_f16 v7, v21, v7
	s_delay_alu instid0(VALU_DEP_3)
	v_fmac_f16_e32 v12, v39, v4
	s_wait_loadcnt 0x1
	v_lshrrev_b32_e32 v11, 16, v2
	v_mul_f16_e32 v14, v38, v2
	s_wait_loadcnt 0x0
	v_lshrrev_b32_e32 v16, 16, v3
	v_pack_b32_f16 v12, v12, v18
	v_mul_f16_e32 v19, v38, v11
	v_fma_f16 v4, v37, v11, -v14
	s_delay_alu instid0(VALU_DEP_4) | instskip(SKIP_1) | instid1(VALU_DEP_4)
	v_mul_f16_e32 v11, v34, v16
	v_mul_f16_e32 v14, v34, v3
	v_fmac_f16_e32 v19, v37, v2
	v_pack_b32_f16 v2, v15, v17
	s_delay_alu instid0(VALU_DEP_4) | instskip(NEXT) | instid1(VALU_DEP_4)
	v_fmac_f16_e32 v11, v33, v3
	v_fma_f16 v3, v33, v16, -v14
	s_delay_alu instid0(VALU_DEP_4) | instskip(NEXT) | instid1(VALU_DEP_2)
	v_pack_b32_f16 v4, v19, v4
	v_pack_b32_f16 v3, v11, v3
	ds_store_2addr_b32 v31, v5, v6 offset1:9
	ds_store_b32 v31, v4 offset:72
	ds_store_2addr_b32 v31, v2, v7 offset0:39 offset1:48
	ds_store_2addr_b32 v31, v12, v3 offset0:69 offset1:78
	s_and_saveexec_b32 s10, vcc_lo
	s_cbranch_execz .LBB0_3
; %bb.2:
	v_add_co_u32 v0, s2, v0, s2
	s_wait_alu 0xf1ff
	v_add_co_ci_u32_e64 v1, s2, s3, v1, s2
	global_load_b32 v6, v[8:9], off offset:108
	v_add_co_u32 v2, s2, v0, s14
	s_wait_alu 0xf1ff
	v_add_co_ci_u32_e64 v3, s2, s15, v1, s2
	s_delay_alu instid0(VALU_DEP_2) | instskip(SKIP_1) | instid1(VALU_DEP_2)
	v_add_co_u32 v4, s2, v2, s14
	s_wait_alu 0xf1ff
	v_add_co_ci_u32_e64 v5, s2, s15, v3, s2
	global_load_b32 v7, v[8:9], off offset:228
	global_load_b32 v0, v[0:1], off
	global_load_b32 v1, v[8:9], off offset:348
	global_load_b32 v2, v[2:3], off
	global_load_b32 v3, v[4:5], off
	s_wait_loadcnt 0x5
	v_lshrrev_b32_e32 v4, 16, v6
	s_wait_loadcnt 0x4
	v_lshrrev_b32_e32 v5, 16, v7
	;; [unrolled: 2-line block ×3, first 2 shown]
	v_mul_f16_e32 v12, v4, v0
	s_wait_loadcnt 0x1
	v_lshrrev_b32_e32 v14, 16, v2
	v_lshrrev_b32_e32 v13, 16, v1
	s_wait_loadcnt 0x0
	v_lshrrev_b32_e32 v15, 16, v3
	v_mul_f16_e32 v4, v4, v11
	v_fma_f16 v11, v6, v11, -v12
	v_mul_f16_e32 v12, v5, v2
	v_mul_f16_e32 v5, v5, v14
	;; [unrolled: 1-line block ×4, first 2 shown]
	v_fmac_f16_e32 v4, v6, v0
	v_fma_f16 v0, v7, v14, -v12
	v_fmac_f16_e32 v5, v7, v2
	v_fmac_f16_e32 v16, v1, v3
	v_fma_f16 v1, v1, v15, -v13
	v_pack_b32_f16 v2, v4, v11
	s_delay_alu instid0(VALU_DEP_4) | instskip(NEXT) | instid1(VALU_DEP_3)
	v_pack_b32_f16 v0, v5, v0
	v_pack_b32_f16 v1, v16, v1
	ds_store_2addr_b32 v31, v2, v0 offset0:27 offset1:57
	ds_store_b32 v31, v1 offset:348
.LBB0_3:
	s_wait_alu 0xfffe
	s_or_b32 exec_lo, exec_lo, s10
	global_wb scope:SCOPE_SE
	s_wait_dscnt 0x0
	s_wait_kmcnt 0x0
	s_barrier_signal -1
	s_barrier_wait -1
	global_inv scope:SCOPE_SE
	ds_load_2addr_b32 v[11:12], v31 offset1:9
	ds_load_2addr_b32 v[3:4], v31 offset0:18 offset1:30
	ds_load_2addr_b32 v[1:2], v31 offset0:60 offset1:69
	;; [unrolled: 1-line block ×3, first 2 shown]
	ds_load_b32 v7, v31 offset:312
                                        ; implicit-def: $vgpr13
                                        ; implicit-def: $vgpr0
	s_and_saveexec_b32 s2, vcc_lo
	s_cbranch_execz .LBB0_5
; %bb.4:
	ds_load_2addr_b32 v[13:14], v31 offset0:27 offset1:57
	ds_load_b32 v0, v31 offset:348
.LBB0_5:
	s_wait_alu 0xfffe
	s_or_b32 exec_lo, exec_lo, s2
	s_wait_dscnt 0x0
	v_pk_add_f16 v18, v14, v0
	v_pk_add_f16 v19, v14, v0 neg_lo:[0,1] neg_hi:[0,1]
	v_pk_add_f16 v14, v13, v14
	s_load_b64 s[0:1], s[0:1], 0x8
	v_pk_add_f16 v20, v12, v5
	v_pk_fma_f16 v13, v18, 0.5, v13 op_sel_hi:[1,0,1] neg_lo:[1,0,0] neg_hi:[1,0,0]
	v_pk_mul_f16 v18, 0x3aee, v19 op_sel_hi:[0,1]
	v_pk_add_f16 v19, v11, v4
	v_pk_add_f16 v0, v14, v0
	;; [unrolled: 1-line block ×3, first 2 shown]
	v_pk_add_f16 v4, v4, v1 neg_lo:[0,1] neg_hi:[0,1]
	v_pk_add_f16 v21, v13, v18 op_sel:[0,1] op_sel_hi:[1,0] neg_lo:[0,1] neg_hi:[0,1]
	v_pk_add_f16 v22, v13, v18 op_sel:[0,1] op_sel_hi:[1,0]
	v_mul_lo_u16 v13, v43, 3
	v_pk_fma_f16 v11, v14, 0.5, v11 op_sel_hi:[1,0,1] neg_lo:[1,0,0] neg_hi:[1,0,0]
	v_pk_mul_f16 v4, 0x3aee, v4 op_sel_hi:[0,1]
	v_add_co_u32 v16, s2, v43, 9
	s_delay_alu instid0(VALU_DEP_4) | instskip(SKIP_1) | instid1(VALU_DEP_4)
	v_and_b32_e32 v13, 0xffff, v13
	v_pk_add_f16 v23, v3, v6
	v_pk_add_f16 v14, v11, v4 op_sel:[0,1] op_sel_hi:[1,0]
	v_pk_add_f16 v4, v11, v4 op_sel:[0,1] op_sel_hi:[1,0] neg_lo:[0,1] neg_hi:[0,1]
	v_pk_add_f16 v11, v5, v2
	v_pk_add_f16 v5, v5, v2 neg_lo:[0,1] neg_hi:[0,1]
	v_lshl_add_u32 v53, v13, 2, v52
	v_pk_add_f16 v1, v19, v1
	v_bfi_b32 v13, 0xffff, v14, v4
	v_pk_fma_f16 v11, v11, 0.5, v12 op_sel_hi:[1,0,1] neg_lo:[1,0,0] neg_hi:[1,0,0]
	v_pk_add_f16 v12, v6, v7
	v_pk_add_f16 v6, v6, v7 neg_lo:[0,1] neg_hi:[0,1]
	v_bfi_b32 v4, 0xffff, v4, v14
	s_wait_alu 0xf1ff
	v_add_co_ci_u32_e64 v15, null, 0, 0, s2
	v_add_co_u32 v15, s2, v43, 18
	v_pk_mul_f16 v5, 0x3aee, v5 op_sel_hi:[0,1]
	global_wb scope:SCOPE_SE
	s_wait_kmcnt 0x0
	s_barrier_signal -1
	s_barrier_wait -1
	global_inv scope:SCOPE_SE
	ds_store_2addr_b32 v53, v1, v13 offset1:1
	ds_store_b32 v53, v4 offset:8
	v_pk_fma_f16 v1, v12, 0.5, v3 op_sel_hi:[1,0,1] neg_lo:[1,0,0] neg_hi:[1,0,0]
	v_pk_mul_f16 v3, 0x3aee, v6 op_sel_hi:[0,1]
	s_wait_alu 0xf1ff
	v_add_co_ci_u32_e64 v17, null, 0, 0, s2
	v_add_co_u32 v17, null, v43, 27
	v_mul_u32_u24_e32 v14, 3, v16
	v_pk_add_f16 v4, v11, v5 op_sel:[0,1] op_sel_hi:[1,0]
	v_pk_add_f16 v5, v11, v5 op_sel:[0,1] op_sel_hi:[1,0] neg_lo:[0,1] neg_hi:[0,1]
	v_mul_u32_u24_e32 v6, 3, v15
	v_pk_add_f16 v11, v1, v3 op_sel:[0,1] op_sel_hi:[1,0]
	v_pk_add_f16 v1, v1, v3 op_sel:[0,1] op_sel_hi:[1,0] neg_lo:[0,1] neg_hi:[0,1]
	v_lshl_add_u32 v54, v14, 2, v52
	v_pk_add_f16 v2, v20, v2
	v_bfi_b32 v3, 0xffff, v4, v5
	v_lshl_add_u32 v56, v6, 2, v52
	v_mul_u32_u24_e32 v55, 3, v17
	v_bfi_b32 v4, 0xffff, v5, v4
	v_pk_add_f16 v5, v23, v7
	v_bfi_b32 v6, 0xffff, v11, v1
	v_bfi_b32 v1, 0xffff, v1, v11
	ds_store_2addr_b32 v54, v2, v3 offset1:1
	ds_store_b32 v54, v4 offset:8
	ds_store_2addr_b32 v56, v5, v6 offset1:1
	ds_store_b32 v56, v1 offset:8
	s_and_saveexec_b32 s2, vcc_lo
	s_cbranch_execz .LBB0_7
; %bb.6:
	v_lshl_add_u32 v1, v55, 2, v52
	v_bfi_b32 v2, 0xffff, v21, v22
	v_bfi_b32 v3, 0xffff, v22, v21
	ds_store_b32 v1, v0
	ds_store_2addr_b32 v1, v3, v2 offset0:1 offset1:2
.LBB0_7:
	s_wait_alu 0xfffe
	s_or_b32 exec_lo, exec_lo, s2
	global_wb scope:SCOPE_SE
	s_wait_dscnt 0x0
	s_barrier_signal -1
	s_barrier_wait -1
	global_inv scope:SCOPE_SE
	ds_load_2addr_b32 v[4:5], v31 offset1:9
	ds_load_2addr_b32 v[2:3], v31 offset0:18 offset1:30
	ds_load_2addr_b32 v[19:20], v31 offset0:60 offset1:69
	;; [unrolled: 1-line block ×3, first 2 shown]
	ds_load_b32 v23, v31 offset:312
	v_lshrrev_b32_e32 v24, 16, v21
	s_and_saveexec_b32 s2, vcc_lo
	s_cbranch_execz .LBB0_9
; %bb.8:
	ds_load_2addr_b32 v[0:1], v31 offset0:27 offset1:57
	ds_load_b32 v21, v31 offset:348
	s_wait_dscnt 0x1
	v_lshrrev_b32_e32 v24, 16, v1
	s_wait_dscnt 0x0
	v_bfi_b32 v22, 0xffff, v1, v21
.LBB0_9:
	s_wait_alu 0xfffe
	s_or_b32 exec_lo, exec_lo, s2
	v_and_b32_e32 v1, 0xff, v43
	v_and_b32_e32 v11, 0xff, v16
	;; [unrolled: 1-line block ×4, first 2 shown]
	s_wait_dscnt 0x3
	v_lshrrev_b32_e32 v70, 16, v3
	v_mul_lo_u16 v1, 0xab, v1
	v_mul_lo_u16 v11, 0xab, v11
	;; [unrolled: 1-line block ×3, first 2 shown]
	s_wait_dscnt 0x2
	v_lshrrev_b32_e32 v71, 16, v19
	s_wait_dscnt 0x1
	v_lshrrev_b32_e32 v73, 16, v6
	v_lshrrev_b16 v1, 9, v1
	v_lshrrev_b16 v25, 9, v11
	v_mul_lo_u16 v11, 0xab, v13
	v_lshrrev_b16 v12, 9, v12
	v_lshrrev_b32_e32 v74, 16, v20
	v_mul_lo_u16 v13, v1, 3
	v_mul_lo_u16 v14, v25, 3
	v_lshrrev_b16 v26, 9, v11
	v_mul_lo_u16 v11, v12, 3
	v_lshrrev_b32_e32 v76, 16, v7
	v_sub_nc_u16 v27, v43, v13
	v_sub_nc_u16 v28, v16, v14
	v_mul_lo_u16 v12, v26, 3
	v_sub_nc_u16 v29, v17, v11
	v_and_b32_e32 v26, 0xffff, v26
	v_lshlrev_b16 v13, 1, v27
	v_lshlrev_b16 v11, 1, v28
	v_sub_nc_u16 v12, v15, v12
	v_lshlrev_b16 v14, 1, v29
	v_mad_u16 v1, v1, 9, v27
	v_and_b32_e32 v13, 0xfe, v13
	v_and_b32_e32 v11, 0xfe, v11
	;; [unrolled: 1-line block ×3, first 2 shown]
	v_mad_u16 v25, v25, 9, v28
	v_mul_u32_u24_e32 v26, 9, v26
	v_lshlrev_b32_e32 v12, 2, v13
	v_and_b32_e32 v13, 0xfe, v14
	v_lshlrev_b32_e32 v11, 2, v11
	v_lshlrev_b32_e32 v14, 3, v30
	v_and_b32_e32 v58, 0xff, v1
	global_load_b64 v[17:18], v12, s[0:1]
	v_lshlrev_b32_e32 v12, 2, v13
	s_wait_dscnt 0x0
	v_lshrrev_b32_e32 v27, 16, v23
	s_clause 0x2
	global_load_b64 v[15:16], v11, s[0:1]
	global_load_b64 v[13:14], v14, s[0:1]
	;; [unrolled: 1-line block ×3, first 2 shown]
	v_lshrrev_b32_e32 v28, 16, v22
	v_and_b32_e32 v25, 0xff, v25
	v_add_nc_u32_e32 v26, v26, v30
	v_and_b32_e32 v57, 0xff, v29
	v_lshl_add_u32 v62, v58, 2, v52
	v_lshrrev_b32_e32 v63, 16, v4
	v_lshl_add_u32 v61, v25, 2, v52
	v_lshl_add_u32 v60, v26, 2, v52
	v_lshrrev_b32_e32 v72, 16, v5
	v_lshrrev_b32_e32 v75, 16, v2
	;; [unrolled: 1-line block ×3, first 2 shown]
	global_wb scope:SCOPE_SE
	s_wait_loadcnt 0x0
	s_barrier_signal -1
	s_barrier_wait -1
	global_inv scope:SCOPE_SE
	v_lshrrev_b32_e32 v69, 16, v17
	v_lshrrev_b32_e32 v68, 16, v18
	;; [unrolled: 1-line block ×8, first 2 shown]
	v_mul_f16_e32 v29, v70, v69
	v_mul_f16_e32 v30, v3, v69
	;; [unrolled: 1-line block ×16, first 2 shown]
	v_fma_f16 v29, v3, v17, -v29
	v_fmac_f16_e32 v30, v70, v17
	v_fma_f16 v19, v19, v18, -v77
	v_fmac_f16_e32 v78, v71, v18
	;; [unrolled: 2-line block ×8, first 2 shown]
	v_add_f16_e32 v22, v29, v19
	v_add_f16_e32 v28, v30, v78
	;; [unrolled: 1-line block ×7, first 2 shown]
	v_sub_f16_e32 v24, v30, v78
	v_add_f16_e32 v27, v63, v30
	v_sub_f16_e32 v29, v29, v19
	v_add_f16_e32 v30, v5, v70
	v_sub_f16_e32 v73, v80, v82
	v_add_f16_e32 v74, v72, v80
	v_add_f16_e32 v77, v2, v7
	v_sub_f16_e32 v81, v84, v86
	v_add_f16_e32 v80, v75, v84
	v_add_f16_e32 v84, v3, v6
	;; [unrolled: 1-line block ×3, first 2 shown]
	v_fma_f16 v4, -0.5, v22, v4
	v_fmac_f16_e32 v63, -0.5, v28
	v_sub_f16_e32 v70, v70, v20
	v_fmac_f16_e32 v5, -0.5, v71
	v_fmac_f16_e32 v72, -0.5, v76
	v_sub_f16_e32 v7, v7, v23
	v_fmac_f16_e32 v2, -0.5, v79
	v_fmac_f16_e32 v75, -0.5, v83
	v_sub_f16_e32 v85, v26, v25
	v_sub_f16_e32 v88, v3, v6
	v_add_f16_e32 v19, v21, v19
	v_add_f16_e32 v22, v27, v78
	;; [unrolled: 1-line block ×5, first 2 shown]
	v_fma_f16 v80, -0.5, v84, v0
	v_fma_f16 v79, -0.5, v87, v1
	v_fmamk_f16 v71, v24, 0x3aee, v4
	v_fmac_f16_e32 v4, 0xbaee, v24
	v_fmamk_f16 v24, v29, 0xbaee, v63
	v_fmac_f16_e32 v63, 0x3aee, v29
	v_add_f16_e32 v28, v74, v82
	v_fmamk_f16 v29, v73, 0x3aee, v5
	v_fmac_f16_e32 v5, 0xbaee, v73
	v_fmamk_f16 v73, v70, 0xbaee, v72
	v_fmac_f16_e32 v72, 0x3aee, v70
	v_fmamk_f16 v70, v81, 0x3aee, v2
	v_fmamk_f16 v74, v7, 0xbaee, v75
	v_fmac_f16_e32 v2, 0xbaee, v81
	v_fmac_f16_e32 v75, 0x3aee, v7
	v_fmamk_f16 v20, v85, 0x3aee, v80
	v_fmac_f16_e32 v80, 0xbaee, v85
	v_fmamk_f16 v21, v88, 0xbaee, v79
	v_fmac_f16_e32 v79, 0x3aee, v88
	v_pack_b32_f16 v7, v19, v22
	v_pack_b32_f16 v22, v23, v30
	;; [unrolled: 1-line block ×9, first 2 shown]
	ds_store_2addr_b32 v62, v7, v23 offset1:3
	ds_store_b32 v62, v4 offset:24
	ds_store_2addr_b32 v61, v19, v24 offset1:3
	ds_store_b32 v61, v5 offset:24
	ds_store_2addr_b32 v60, v22, v27 offset1:3
	ds_store_b32 v60, v2 offset:24
	s_and_saveexec_b32 s2, vcc_lo
	s_cbranch_execz .LBB0_11
; %bb.10:
	v_add_f16_e32 v1, v1, v26
	v_add_f16_e32 v0, v0, v3
	v_lshl_add_u32 v2, v57, 2, v52
	v_perm_b32 v3, v21, v20, 0x5040100
	s_delay_alu instid0(VALU_DEP_4) | instskip(NEXT) | instid1(VALU_DEP_4)
	v_add_f16_e32 v1, v1, v25
	v_add_f16_e32 v0, v0, v6
	s_delay_alu instid0(VALU_DEP_1)
	v_pack_b32_f16 v0, v0, v1
	v_perm_b32 v1, v79, v80, 0x5040100
	ds_store_2addr_b32 v2, v0, v3 offset0:81 offset1:84
	ds_store_b32 v2, v1 offset:348
.LBB0_11:
	s_wait_alu 0xfffe
	s_or_b32 exec_lo, exec_lo, s2
	v_mad_co_u64_u32 v[22:23], null, v43, 36, s[0:1]
	global_wb scope:SCOPE_SE
	s_wait_dscnt 0x0
	s_barrier_signal -1
	s_barrier_wait -1
	global_inv scope:SCOPE_SE
	s_add_nc_u64 s[0:1], s[16:17], 0x168
	s_clause 0x2
	global_load_b128 v[4:7], v[22:23], off offset:24
	global_load_b128 v[0:3], v[22:23], off offset:40
	global_load_b32 v63, v[22:23], off offset:56
	ds_load_2addr_b32 v[23:24], v31 offset1:9
	ds_load_2addr_b32 v[25:26], v31 offset0:18 offset1:27
	ds_load_2addr_b32 v[27:28], v31 offset0:36 offset1:45
	;; [unrolled: 1-line block ×4, first 2 shown]
	v_lshlrev_b32_e32 v22, 2, v43
	s_wait_dscnt 0x4
	v_lshrrev_b32_e32 v19, 16, v24
	s_wait_dscnt 0x3
	v_lshrrev_b32_e32 v84, 16, v25
	v_lshrrev_b32_e32 v85, 16, v26
	s_wait_dscnt 0x2
	v_lshrrev_b32_e32 v86, 16, v27
	;; [unrolled: 3-line block ×4, first 2 shown]
	v_lshrrev_b32_e32 v91, 16, v82
	v_lshrrev_b32_e32 v83, 16, v23
	s_wait_loadcnt 0x2
	v_lshrrev_b32_e32 v78, 16, v4
	v_lshrrev_b32_e32 v76, 16, v5
	;; [unrolled: 1-line block ×4, first 2 shown]
	s_wait_loadcnt 0x1
	v_lshrrev_b32_e32 v74, 16, v0
	v_lshrrev_b32_e32 v73, 16, v1
	;; [unrolled: 1-line block ×4, first 2 shown]
	s_wait_loadcnt 0x0
	v_lshrrev_b32_e32 v70, 16, v63
	v_mul_f16_e32 v92, v19, v78
	v_mul_f16_e32 v93, v24, v78
	;; [unrolled: 1-line block ×18, first 2 shown]
	v_fma_f16 v24, v24, v4, -v92
	v_fmac_f16_e32 v93, v19, v4
	v_fma_f16 v19, v25, v5, -v94
	v_fmac_f16_e32 v95, v84, v5
	;; [unrolled: 2-line block ×9, first 2 shown]
	v_add_f16_e32 v82, v23, v19
	v_add_f16_e32 v84, v26, v28
	v_sub_f16_e32 v87, v19, v26
	v_sub_f16_e32 v88, v30, v28
	;; [unrolled: 1-line block ×4, first 2 shown]
	v_add_f16_e32 v92, v83, v95
	v_sub_f16_e32 v98, v95, v99
	v_sub_f16_e32 v100, v107, v103
	v_add_f16_e32 v106, v24, v25
	v_add_f16_e32 v108, v27, v29
	;; [unrolled: 1-line block ×6, first 2 shown]
	v_sub_f16_e32 v85, v95, v107
	v_sub_f16_e32 v86, v99, v103
	v_add_f16_e32 v89, v19, v30
	v_add_f16_e32 v94, v99, v103
	v_sub_f16_e32 v96, v26, v28
	v_add_f16_e32 v102, v95, v107
	v_sub_f16_e32 v95, v99, v95
	v_sub_f16_e32 v110, v97, v109
	;; [unrolled: 1-line block ×6, first 2 shown]
	v_add_f16_e32 v26, v82, v26
	v_fma_f16 v82, -0.5, v84, v23
	v_add_f16_e32 v84, v87, v88
	v_add_f16_e32 v87, v90, v91
	;; [unrolled: 1-line block ×5, first 2 shown]
	v_fma_f16 v92, -0.5, v108, v24
	v_add_f16_e32 v98, v117, v101
	v_fma_f16 v99, -0.5, v118, v93
	v_sub_f16_e32 v104, v103, v107
	v_sub_f16_e32 v111, v101, v105
	v_fmac_f16_e32 v24, -0.5, v114
	v_fmac_f16_e32 v93, -0.5, v122
	v_sub_f16_e32 v113, v81, v29
	v_sub_f16_e32 v116, v29, v81
	;; [unrolled: 1-line block ×5, first 2 shown]
	v_fmac_f16_e32 v23, -0.5, v89
	v_fma_f16 v89, -0.5, v94, v83
	v_fmac_f16_e32 v83, -0.5, v102
	v_add_f16_e32 v27, v27, v29
	v_fmamk_f16 v29, v110, 0x3b9c, v92
	v_add_f16_e32 v98, v98, v105
	v_fmamk_f16 v105, v25, 0xbb9c, v99
	v_sub_f16_e32 v97, v101, v97
	v_add_f16_e32 v91, v95, v104
	v_fmamk_f16 v104, v111, 0xbb9c, v24
	v_fmac_f16_e32 v24, 0x3b9c, v111
	v_fmamk_f16 v106, v119, 0x3b9c, v93
	v_fmac_f16_e32 v93, 0xbb9c, v119
	v_sub_f16_e32 v19, v19, v30
	v_fmac_f16_e32 v92, 0xbb9c, v110
	v_fmac_f16_e32 v99, 0x3b9c, v25
	v_add_f16_e32 v94, v112, v113
	v_add_f16_e32 v100, v120, v121
	v_add_f16_e32 v26, v26, v28
	v_add_f16_e32 v88, v88, v103
	v_fmamk_f16 v103, v96, 0x3b9c, v83
	v_fmac_f16_e32 v83, 0xbb9c, v96
	v_fmac_f16_e32 v29, 0x38b4, v111
	;; [unrolled: 1-line block ×3, first 2 shown]
	v_add_f16_e32 v95, v115, v116
	v_add_f16_e32 v97, v97, v123
	v_fmamk_f16 v28, v85, 0x3b9c, v82
	v_fmac_f16_e32 v82, 0xbb9c, v85
	v_fmamk_f16 v101, v86, 0xbb9c, v23
	v_fmac_f16_e32 v23, 0x3b9c, v86
	v_fmac_f16_e32 v104, 0x38b4, v110
	;; [unrolled: 1-line block ×5, first 2 shown]
	v_fmamk_f16 v102, v19, 0xbb9c, v89
	v_fmac_f16_e32 v89, 0x3b9c, v19
	v_fmac_f16_e32 v92, 0xb8b4, v111
	;; [unrolled: 1-line block ×3, first 2 shown]
	v_add_f16_e32 v26, v26, v30
	v_add_f16_e32 v30, v88, v107
	v_fmac_f16_e32 v103, 0xb8b4, v19
	v_fmac_f16_e32 v83, 0x38b4, v19
	v_add_f16_e32 v19, v27, v81
	v_add_f16_e32 v27, v98, v109
	v_fmac_f16_e32 v29, 0x34f2, v94
	v_fmac_f16_e32 v105, 0x34f2, v100
	;; [unrolled: 1-line block ×14, first 2 shown]
	v_add_f16_e32 v25, v26, v19
	v_add_f16_e32 v81, v30, v27
	v_sub_f16_e32 v19, v26, v19
	v_sub_f16_e32 v26, v30, v27
	v_mul_f16_e32 v27, 0x38b4, v105
	v_mul_f16_e32 v86, 0xb8b4, v29
	v_fmac_f16_e32 v28, 0x34f2, v84
	v_fmac_f16_e32 v82, 0x34f2, v84
	;; [unrolled: 1-line block ×4, first 2 shown]
	v_mul_f16_e32 v30, 0x3b9c, v106
	v_mul_f16_e32 v84, 0x34f2, v24
	v_mul_f16_e32 v87, 0xbb9c, v104
	v_mul_f16_e32 v88, 0x34f2, v93
	v_fmac_f16_e32 v102, 0x34f2, v90
	v_fmac_f16_e32 v89, 0x34f2, v90
	v_mul_f16_e32 v85, 0x3a79, v92
	v_mul_f16_e32 v90, 0x3a79, v99
	v_fmac_f16_e32 v27, 0x3a79, v29
	v_fmac_f16_e32 v86, 0x3a79, v105
	;; [unrolled: 1-line block ×4, first 2 shown]
	v_pack_b32_f16 v26, v19, v26
	v_fmac_f16_e32 v30, 0x34f2, v104
	v_fma_f16 v19, v93, 0x3b9c, -v84
	v_fmac_f16_e32 v87, 0x34f2, v106
	v_fma_f16 v24, v24, 0xbb9c, -v88
	v_pack_b32_f16 v25, v25, v81
	v_fma_f16 v29, v99, 0x38b4, -v85
	v_fma_f16 v81, v92, 0xb8b4, -v90
	v_add_f16_e32 v84, v28, v27
	v_add_f16_e32 v91, v102, v86
	;; [unrolled: 1-line block ×8, first 2 shown]
	v_sub_f16_e32 v27, v28, v27
	v_sub_f16_e32 v28, v101, v30
	;; [unrolled: 1-line block ×8, first 2 shown]
	v_pack_b32_f16 v82, v84, v91
	v_pack_b32_f16 v83, v85, v92
	;; [unrolled: 1-line block ×8, first 2 shown]
	ds_store_2addr_b32 v31, v25, v82 offset1:9
	ds_store_2addr_b32 v31, v83, v84 offset0:18 offset1:27
	ds_store_2addr_b32 v31, v85, v26 offset0:36 offset1:45
	ds_store_2addr_b32 v31, v27, v28 offset0:54 offset1:63
	ds_store_2addr_b32 v31, v23, v24 offset0:72 offset1:81
	global_wb scope:SCOPE_SE
	s_wait_dscnt 0x0
	s_barrier_signal -1
	s_barrier_wait -1
	global_inv scope:SCOPE_SE
	s_clause 0x8
	global_load_b32 v82, v[8:9], off offset:360
	global_load_b32 v83, v22, s[0:1] offset:36
	global_load_b32 v84, v22, s[0:1] offset:120
	;; [unrolled: 1-line block ×8, first 2 shown]
	ds_load_2addr_b32 v[23:24], v31 offset1:9
	ds_load_2addr_b32 v[25:26], v31 offset0:18 offset1:30
	ds_load_2addr_b32 v[27:28], v31 offset0:60 offset1:69
	;; [unrolled: 1-line block ×3, first 2 shown]
	ds_load_b32 v91, v31 offset:312
	s_wait_dscnt 0x4
	v_lshrrev_b32_e32 v92, 16, v23
	v_lshrrev_b32_e32 v95, 16, v24
	s_wait_dscnt 0x2
	v_lshrrev_b32_e32 v94, 16, v27
	v_lshrrev_b32_e32 v97, 16, v28
	;; [unrolled: 1-line block ×4, first 2 shown]
	s_wait_dscnt 0x1
	v_lshrrev_b32_e32 v96, 16, v29
	v_lshrrev_b32_e32 v99, 16, v30
	s_wait_dscnt 0x0
	v_lshrrev_b32_e32 v100, 16, v91
	s_wait_loadcnt 0x8
	v_lshrrev_b32_e32 v101, 16, v82
	s_wait_loadcnt 0x7
	;; [unrolled: 2-line block ×9, first 2 shown]
	v_lshrrev_b32_e32 v107, 16, v90
	v_mul_f16_e32 v110, v92, v101
	v_mul_f16_e32 v101, v23, v101
	;; [unrolled: 1-line block ×18, first 2 shown]
	v_fma_f16 v23, v23, v82, -v110
	v_fmac_f16_e32 v101, v92, v82
	v_fma_f16 v24, v24, v83, -v113
	v_fmac_f16_e32 v104, v95, v83
	;; [unrolled: 2-line block ×9, first 2 shown]
	v_pack_b32_f16 v23, v23, v101
	v_pack_b32_f16 v24, v24, v104
	;; [unrolled: 1-line block ×9, first 2 shown]
	ds_store_2addr_b32 v31, v23, v24 offset1:9
	ds_store_2addr_b32 v31, v27, v28 offset0:60 offset1:69
	ds_store_2addr_b32 v31, v25, v26 offset0:18 offset1:30
	;; [unrolled: 1-line block ×3, first 2 shown]
	ds_store_b32 v31, v82 offset:312
	s_and_saveexec_b32 s2, vcc_lo
	s_cbranch_execz .LBB0_13
; %bb.12:
	s_wait_alu 0xfffe
	v_add_co_u32 v22, s0, s0, v22
	s_wait_alu 0xf1ff
	v_add_co_ci_u32_e64 v23, null, s1, 0, s0
	s_clause 0x2
	global_load_b32 v24, v[22:23], off offset:108
	global_load_b32 v25, v[22:23], off offset:228
	;; [unrolled: 1-line block ×3, first 2 shown]
	ds_load_2addr_b32 v[22:23], v31 offset0:27 offset1:57
	ds_load_b32 v27, v31 offset:348
	s_wait_dscnt 0x1
	v_lshrrev_b32_e32 v28, 16, v22
	v_lshrrev_b32_e32 v30, 16, v23
	s_wait_dscnt 0x0
	v_lshrrev_b32_e32 v83, 16, v27
	s_wait_loadcnt 0x2
	v_lshrrev_b32_e32 v29, 16, v24
	s_wait_loadcnt 0x1
	;; [unrolled: 2-line block ×3, first 2 shown]
	v_lshrrev_b32_e32 v84, 16, v26
	v_mul_f16_e32 v85, v28, v29
	v_mul_f16_e32 v29, v22, v29
	;; [unrolled: 1-line block ×6, first 2 shown]
	v_fma_f16 v22, v22, v24, -v85
	v_fmac_f16_e32 v29, v28, v24
	v_fma_f16 v23, v23, v25, -v86
	v_fmac_f16_e32 v82, v30, v25
	v_fma_f16 v24, v27, v26, -v87
	v_fmac_f16_e32 v84, v83, v26
	v_pack_b32_f16 v22, v22, v29
	s_delay_alu instid0(VALU_DEP_4) | instskip(NEXT) | instid1(VALU_DEP_3)
	v_pack_b32_f16 v23, v23, v82
	v_pack_b32_f16 v24, v24, v84
	ds_store_2addr_b32 v31, v22, v23 offset0:27 offset1:57
	ds_store_b32 v31, v24 offset:348
.LBB0_13:
	s_wait_alu 0xfffe
	s_or_b32 exec_lo, exec_lo, s2
	global_wb scope:SCOPE_SE
	s_wait_dscnt 0x0
	s_barrier_signal -1
	s_barrier_wait -1
	global_inv scope:SCOPE_SE
	ds_load_2addr_b32 v[27:28], v31 offset1:9
	ds_load_2addr_b32 v[25:26], v31 offset0:18 offset1:30
	ds_load_2addr_b32 v[23:24], v31 offset0:60 offset1:69
	;; [unrolled: 1-line block ×3, first 2 shown]
	ds_load_b32 v82, v31 offset:312
	s_and_saveexec_b32 s0, vcc_lo
	s_cbranch_execz .LBB0_15
; %bb.14:
	ds_load_2addr_b32 v[19:20], v31 offset0:27 offset1:57
	ds_load_b32 v80, v31 offset:348
	s_wait_dscnt 0x1
	v_lshrrev_b32_e32 v81, 16, v19
	v_lshrrev_b32_e32 v21, 16, v20
	s_wait_dscnt 0x0
	v_lshrrev_b32_e32 v79, 16, v80
.LBB0_15:
	s_wait_alu 0xfffe
	s_or_b32 exec_lo, exec_lo, s0
	v_add_f16_e32 v85, v19, v20
	s_wait_dscnt 0x3
	v_pk_add_f16 v83, v27, v26
	v_sub_f16_e32 v86, v21, v79
	v_add_f16_e32 v87, v21, v79
	v_add_f16_e32 v89, v81, v21
	;; [unrolled: 1-line block ×3, first 2 shown]
	s_wait_dscnt 0x2
	v_pk_add_f16 v85, v26, v23
	v_pk_add_f16 v26, v26, v23 neg_lo:[0,1] neg_hi:[0,1]
	v_add_f16_e32 v22, v20, v80
	v_fmac_f16_e32 v81, -0.5, v87
	v_sub_f16_e32 v80, v20, v80
	v_pk_fma_f16 v27, v85, 0.5, v27 op_sel_hi:[1,0,1] neg_lo:[1,0,0] neg_hi:[1,0,0]
	v_pk_mul_f16 v26, 0x3aee, v26 op_sel_hi:[0,1]
	s_wait_dscnt 0x1
	v_pk_add_f16 v84, v28, v29
	v_pk_add_f16 v85, v29, v24
	v_pk_add_f16 v29, v29, v24 neg_lo:[0,1] neg_hi:[0,1]
	v_pk_add_f16 v88, v25, v30
	v_add_f16_e32 v20, v89, v79
	v_fmamk_f16 v79, v80, 0x3aee, v81
	v_fmac_f16_e32 v81, 0xbaee, v80
	v_pk_add_f16 v80, v27, v26 op_sel:[0,1] op_sel_hi:[1,0] neg_lo:[0,1] neg_hi:[0,1]
	v_pk_add_f16 v26, v27, v26 op_sel:[0,1] op_sel_hi:[1,0]
	s_wait_dscnt 0x0
	v_pk_add_f16 v27, v30, v82
	v_pk_add_f16 v30, v30, v82 neg_lo:[0,1] neg_hi:[0,1]
	v_pk_fma_f16 v28, v85, 0.5, v28 op_sel_hi:[1,0,1] neg_lo:[1,0,0] neg_hi:[1,0,0]
	v_pk_mul_f16 v29, 0x3aee, v29 op_sel_hi:[0,1]
	v_fmac_f16_e32 v19, -0.5, v22
	v_pk_fma_f16 v25, v27, 0.5, v25 op_sel_hi:[1,0,1] neg_lo:[1,0,0] neg_hi:[1,0,0]
	v_pk_mul_f16 v27, 0x3aee, v30 op_sel_hi:[0,1]
	v_pk_add_f16 v23, v83, v23
	v_pk_add_f16 v83, v28, v29 op_sel:[0,1] op_sel_hi:[1,0] neg_lo:[0,1] neg_hi:[0,1]
	v_pk_add_f16 v28, v28, v29 op_sel:[0,1] op_sel_hi:[1,0]
	v_fmamk_f16 v22, v86, 0xbaee, v19
	v_pk_add_f16 v29, v25, v27 op_sel:[0,1] op_sel_hi:[1,0] neg_lo:[0,1] neg_hi:[0,1]
	v_pk_add_f16 v25, v25, v27 op_sel:[0,1] op_sel_hi:[1,0]
	v_fmac_f16_e32 v19, 0x3aee, v86
	v_bfi_b32 v30, 0xffff, v80, v26
	v_bfi_b32 v26, 0xffff, v26, v80
	v_pk_add_f16 v24, v84, v24
	v_bfi_b32 v27, 0xffff, v83, v28
	v_bfi_b32 v28, 0xffff, v28, v83
	v_pk_add_f16 v80, v88, v82
	v_bfi_b32 v82, 0xffff, v29, v25
	global_wb scope:SCOPE_SE
	s_barrier_signal -1
	s_barrier_wait -1
	global_inv scope:SCOPE_SE
	v_bfi_b32 v25, 0xffff, v25, v29
	ds_store_2addr_b32 v53, v23, v30 offset1:1
	ds_store_b32 v53, v26 offset:8
	ds_store_2addr_b32 v54, v24, v27 offset1:1
	ds_store_b32 v54, v28 offset:8
	;; [unrolled: 2-line block ×3, first 2 shown]
	s_and_saveexec_b32 s0, vcc_lo
	s_cbranch_execz .LBB0_17
; %bb.16:
	v_lshl_add_u32 v23, v55, 2, v52
	v_perm_b32 v24, v79, v22, 0x5040100
	v_perm_b32 v25, v20, v21, 0x5040100
	;; [unrolled: 1-line block ×3, first 2 shown]
	ds_store_2addr_b32 v23, v25, v24 offset1:1
	ds_store_b32 v23, v26 offset:8
.LBB0_17:
	s_wait_alu 0xfffe
	s_or_b32 exec_lo, exec_lo, s0
	global_wb scope:SCOPE_SE
	s_wait_dscnt 0x0
	s_barrier_signal -1
	s_barrier_wait -1
	global_inv scope:SCOPE_SE
	ds_load_2addr_b32 v[25:26], v31 offset1:9
	ds_load_2addr_b32 v[23:24], v31 offset0:18 offset1:30
	ds_load_2addr_b32 v[29:30], v31 offset0:60 offset1:69
	;; [unrolled: 1-line block ×3, first 2 shown]
	ds_load_b32 v53, v31 offset:312
	s_and_saveexec_b32 s0, vcc_lo
	s_cbranch_execz .LBB0_19
; %bb.18:
	ds_load_2addr_b32 v[21:22], v31 offset0:27 offset1:57
	ds_load_b32 v19, v31 offset:348
	s_wait_dscnt 0x1
	v_lshrrev_b32_e32 v20, 16, v21
	v_lshrrev_b32_e32 v79, 16, v22
	s_wait_dscnt 0x0
	v_lshrrev_b32_e32 v81, 16, v19
.LBB0_19:
	s_wait_alu 0xfffe
	s_or_b32 exec_lo, exec_lo, s0
	s_wait_dscnt 0x3
	v_lshrrev_b32_e32 v55, 16, v24
	s_wait_dscnt 0x2
	v_lshrrev_b32_e32 v56, 16, v29
	;; [unrolled: 2-line block ×3, first 2 shown]
	v_lshrrev_b32_e32 v83, 16, v30
	v_lshrrev_b32_e32 v86, 16, v28
	v_mul_f16_e32 v85, v69, v55
	v_mul_f16_e32 v69, v69, v24
	;; [unrolled: 1-line block ×3, first 2 shown]
	s_wait_dscnt 0x0
	v_lshrrev_b32_e32 v87, 16, v53
	v_lshrrev_b32_e32 v54, 16, v25
	v_fmac_f16_e32 v85, v17, v24
	v_mul_f16_e32 v24, v68, v29
	v_fma_f16 v17, v17, v55, -v69
	v_mul_f16_e32 v55, v67, v82
	v_fmac_f16_e32 v88, v18, v29
	v_mul_f16_e32 v29, v67, v27
	v_fma_f16 v18, v18, v56, -v24
	v_mul_f16_e32 v24, v66, v83
	;; [unrolled: 4-line block ×4, first 2 shown]
	v_fmac_f16_e32 v29, v13, v28
	v_mul_f16_e32 v28, v64, v53
	v_fma_f16 v13, v13, v86, -v30
	v_add_f16_e32 v30, v85, v88
	v_fmac_f16_e32 v27, v14, v53
	v_add_f16_e32 v53, v25, v85
	v_fma_f16 v14, v14, v87, -v28
	v_add_f16_e32 v28, v17, v18
	v_fma_f16 v25, -0.5, v30, v25
	v_sub_f16_e32 v30, v17, v18
	v_add_f16_e32 v17, v54, v17
	v_lshrrev_b32_e32 v80, 16, v26
	v_fmac_f16_e32 v54, -0.5, v28
	v_sub_f16_e32 v28, v85, v88
	v_fmamk_f16 v56, v30, 0xbaee, v25
	v_add_f16_e32 v17, v17, v18
	v_add_f16_e32 v18, v55, v24
	v_fmac_f16_e32 v25, 0x3aee, v30
	v_fmamk_f16 v30, v28, 0x3aee, v54
	v_add_f16_e32 v64, v26, v55
	v_fmac_f16_e32 v54, 0xbaee, v28
	v_add_f16_e32 v28, v15, v16
	v_fmac_f16_e32 v26, -0.5, v18
	v_sub_f16_e32 v18, v15, v16
	v_add_f16_e32 v15, v80, v15
	v_add_f16_e32 v64, v64, v24
	v_fmac_f16_e32 v80, -0.5, v28
	v_sub_f16_e32 v24, v55, v24
	v_lshrrev_b32_e32 v84, 16, v23
	v_add_f16_e32 v15, v15, v16
	v_add_f16_e32 v16, v29, v27
	v_fmamk_f16 v28, v18, 0xbaee, v26
	v_fmac_f16_e32 v26, 0x3aee, v18
	v_fmamk_f16 v18, v24, 0x3aee, v80
	v_fmac_f16_e32 v80, 0xbaee, v24
	v_add_f16_e32 v24, v13, v14
	v_add_f16_e32 v53, v53, v88
	;; [unrolled: 1-line block ×3, first 2 shown]
	v_fmac_f16_e32 v23, -0.5, v16
	v_sub_f16_e32 v16, v13, v14
	v_add_f16_e32 v13, v84, v13
	v_fmac_f16_e32 v84, -0.5, v24
	v_sub_f16_e32 v24, v29, v27
	v_add_f16_e32 v27, v55, v27
	v_fmamk_f16 v29, v16, 0xbaee, v23
	v_fmac_f16_e32 v23, 0x3aee, v16
	v_pack_b32_f16 v16, v53, v17
	v_pack_b32_f16 v17, v56, v30
	v_add_f16_e32 v13, v13, v14
	v_fmamk_f16 v14, v24, 0x3aee, v84
	v_fmac_f16_e32 v84, 0xbaee, v24
	global_wb scope:SCOPE_SE
	s_barrier_signal -1
	s_barrier_wait -1
	global_inv scope:SCOPE_SE
	ds_store_2addr_b32 v62, v16, v17 offset1:3
	v_pack_b32_f16 v16, v25, v54
	v_pack_b32_f16 v15, v64, v15
	;; [unrolled: 1-line block ×7, first 2 shown]
	ds_store_b32 v62, v16 offset:24
	ds_store_2addr_b32 v61, v15, v17 offset1:3
	ds_store_b32 v61, v18 offset:24
	ds_store_2addr_b32 v60, v13, v14 offset1:3
	ds_store_b32 v60, v23 offset:24
	s_and_saveexec_b32 s0, vcc_lo
	s_cbranch_execz .LBB0_21
; %bb.20:
	v_mul_f16_e32 v13, v59, v22
	v_mul_f16_e32 v14, v58, v19
	;; [unrolled: 1-line block ×4, first 2 shown]
	s_delay_alu instid0(VALU_DEP_4) | instskip(NEXT) | instid1(VALU_DEP_4)
	v_fma_f16 v13, v11, v79, -v13
	v_fma_f16 v14, v12, v81, -v14
	s_delay_alu instid0(VALU_DEP_4) | instskip(NEXT) | instid1(VALU_DEP_4)
	v_fmac_f16_e32 v15, v11, v22
	v_fmac_f16_e32 v16, v12, v19
	s_delay_alu instid0(VALU_DEP_4) | instskip(NEXT) | instid1(VALU_DEP_4)
	v_add_f16_e32 v18, v20, v13
	v_add_f16_e32 v11, v13, v14
	v_sub_f16_e32 v13, v13, v14
	s_delay_alu instid0(VALU_DEP_4)
	v_add_f16_e32 v17, v15, v16
	v_sub_f16_e32 v12, v15, v16
	v_add_f16_e32 v15, v21, v15
	v_fma_f16 v11, -0.5, v11, v20
	v_add_f16_e32 v14, v18, v14
	v_fma_f16 v17, -0.5, v17, v21
	s_delay_alu instid0(VALU_DEP_4) | instskip(NEXT) | instid1(VALU_DEP_4)
	v_add_f16_e32 v15, v15, v16
	v_fmamk_f16 v16, v12, 0xbaee, v11
	v_fmac_f16_e32 v11, 0x3aee, v12
	s_delay_alu instid0(VALU_DEP_4) | instskip(SKIP_3) | instid1(VALU_DEP_4)
	v_fmamk_f16 v12, v13, 0x3aee, v17
	v_fmac_f16_e32 v17, 0xbaee, v13
	v_lshl_add_u32 v13, v57, 2, v52
	v_pack_b32_f16 v14, v15, v14
	v_pack_b32_f16 v12, v12, v16
	s_delay_alu instid0(VALU_DEP_4)
	v_pack_b32_f16 v11, v17, v11
	ds_store_2addr_b32 v13, v14, v11 offset0:81 offset1:84
	ds_store_b32 v13, v12 offset:348
.LBB0_21:
	s_wait_alu 0xfffe
	s_or_b32 exec_lo, exec_lo, s0
	global_wb scope:SCOPE_SE
	s_wait_dscnt 0x0
	s_barrier_signal -1
	s_barrier_wait -1
	global_inv scope:SCOPE_SE
	ds_load_2addr_b32 v[11:12], v31 offset1:9
	ds_load_2addr_b32 v[13:14], v31 offset0:18 offset1:27
	ds_load_2addr_b32 v[15:16], v31 offset0:36 offset1:45
	;; [unrolled: 1-line block ×4, first 2 shown]
	s_mov_b32 s10, 0x16c16c17
	s_mov_b32 s11, 0x3f86c16c
	s_wait_dscnt 0x4
	v_lshrrev_b32_e32 v22, 16, v12
	s_wait_dscnt 0x3
	v_lshrrev_b32_e32 v23, 16, v13
	v_lshrrev_b32_e32 v24, 16, v14
	s_wait_dscnt 0x2
	v_lshrrev_b32_e32 v25, 16, v15
	v_mul_f16_e32 v52, v78, v12
	v_mul_f16_e32 v53, v76, v13
	v_lshrrev_b32_e32 v26, 16, v16
	s_wait_dscnt 0x1
	v_lshrrev_b32_e32 v27, 16, v17
	v_mul_f16_e32 v54, v77, v14
	v_mul_f16_e32 v55, v75, v15
	;; [unrolled: 1-line block ×3, first 2 shown]
	v_fma_f16 v22, v4, v22, -v52
	v_mul_f16_e32 v52, v76, v23
	v_mul_f16_e32 v57, v77, v24
	v_fma_f16 v23, v5, v23, -v53
	v_mul_f16_e32 v53, v75, v25
	s_wait_dscnt 0x0
	v_lshrrev_b32_e32 v29, 16, v19
	v_fmac_f16_e32 v56, v4, v12
	v_fmac_f16_e32 v52, v5, v13
	;; [unrolled: 1-line block ×3, first 2 shown]
	v_fma_f16 v4, v6, v24, -v54
	v_mul_f16_e32 v5, v74, v26
	v_fmac_f16_e32 v53, v7, v15
	v_fma_f16 v6, v7, v25, -v55
	v_mul_f16_e32 v7, v74, v16
	v_mul_f16_e32 v12, v73, v27
	v_lshrrev_b32_e32 v28, 16, v18
	v_fmac_f16_e32 v5, v0, v16
	v_mul_f16_e32 v16, v71, v29
	v_fma_f16 v0, v0, v26, -v7
	v_fmac_f16_e32 v12, v1, v17
	v_mul_f16_e32 v7, v71, v19
	v_mul_f16_e32 v13, v73, v17
	;; [unrolled: 1-line block ×3, first 2 shown]
	v_fmac_f16_e32 v16, v3, v19
	v_add_f16_e32 v15, v53, v12
	v_fma_f16 v7, v3, v29, -v7
	v_lshrrev_b32_e32 v21, 16, v11
	v_fma_f16 v1, v1, v27, -v13
	v_fmac_f16_e32 v14, v2, v18
	v_mul_f16_e32 v13, v72, v18
	v_add_f16_e32 v18, v11, v52
	v_fma_f16 v15, -0.5, v15, v11
	v_sub_f16_e32 v24, v23, v7
	v_add_f16_e32 v26, v52, v16
	v_fma_f16 v2, v2, v28, -v13
	v_add_f16_e32 v3, v18, v53
	v_sub_f16_e32 v18, v6, v1
	v_fmamk_f16 v13, v24, 0xbb9c, v15
	v_sub_f16_e32 v19, v52, v53
	v_sub_f16_e32 v25, v16, v12
	v_fmac_f16_e32 v11, -0.5, v26
	v_fmac_f16_e32 v15, 0x3b9c, v24
	v_add_f16_e32 v28, v21, v23
	v_fmac_f16_e32 v13, 0xb8b4, v18
	v_add_f16_e32 v19, v19, v25
	v_fmamk_f16 v25, v18, 0x3b9c, v11
	v_fmac_f16_e32 v15, 0x38b4, v18
	v_fmac_f16_e32 v11, 0xbb9c, v18
	v_add_f16_e32 v18, v28, v6
	v_lshrrev_b32_e32 v30, 16, v20
	v_add_f16_e32 v3, v3, v12
	v_sub_f16_e32 v26, v53, v52
	v_sub_f16_e32 v27, v12, v16
	v_add_f16_e32 v29, v6, v1
	v_fmac_f16_e32 v25, 0xb8b4, v24
	v_fmac_f16_e32 v11, 0x38b4, v24
	v_add_f16_e32 v18, v18, v1
	v_add_f16_e32 v24, v23, v7
	v_mul_f16_e32 v17, v70, v30
	v_add_f16_e32 v3, v3, v16
	v_add_f16_e32 v26, v26, v27
	v_fma_f16 v27, -0.5, v29, v21
	v_sub_f16_e32 v16, v52, v16
	v_sub_f16_e32 v12, v53, v12
	;; [unrolled: 1-line block ×4, first 2 shown]
	v_fmac_f16_e32 v21, -0.5, v24
	v_add_f16_e32 v18, v18, v7
	v_sub_f16_e32 v6, v6, v23
	v_sub_f16_e32 v1, v1, v7
	v_add_f16_e32 v7, v56, v57
	v_fmac_f16_e32 v17, v63, v20
	v_mul_f16_e32 v20, v70, v20
	v_fmac_f16_e32 v13, 0x34f2, v19
	v_fmac_f16_e32 v15, 0x34f2, v19
	;; [unrolled: 1-line block ×3, first 2 shown]
	v_fmamk_f16 v19, v16, 0x3b9c, v27
	v_fmac_f16_e32 v11, 0x34f2, v26
	v_fmac_f16_e32 v27, 0xbb9c, v16
	v_fmamk_f16 v26, v12, 0xbb9c, v21
	v_add_f16_e32 v1, v6, v1
	v_fmac_f16_e32 v21, 0x3b9c, v12
	v_add_f16_e32 v6, v7, v5
	v_fma_f16 v20, v63, v30, -v20
	v_add_f16_e32 v7, v5, v14
	v_fmac_f16_e32 v19, 0x38b4, v12
	v_fmac_f16_e32 v27, 0xb8b4, v12
	;; [unrolled: 1-line block ×4, first 2 shown]
	v_add_f16_e32 v6, v6, v14
	v_add_f16_e32 v12, v57, v17
	v_fma_f16 v7, -0.5, v7, v56
	v_sub_f16_e32 v16, v4, v20
	v_add_f16_e32 v24, v28, v29
	v_fmac_f16_e32 v26, 0x34f2, v1
	v_fmac_f16_e32 v21, 0x34f2, v1
	v_add_f16_e32 v1, v6, v17
	v_sub_f16_e32 v6, v0, v2
	v_fmac_f16_e32 v56, -0.5, v12
	v_fmamk_f16 v12, v16, 0xbb9c, v7
	v_fmac_f16_e32 v7, 0x3b9c, v16
	v_fmac_f16_e32 v19, 0x34f2, v24
	;; [unrolled: 1-line block ×3, first 2 shown]
	v_sub_f16_e32 v23, v57, v5
	v_sub_f16_e32 v24, v17, v14
	v_fmamk_f16 v28, v6, 0x3b9c, v56
	v_fmac_f16_e32 v56, 0xbb9c, v6
	v_sub_f16_e32 v29, v5, v57
	v_sub_f16_e32 v30, v14, v17
	v_fmac_f16_e32 v12, 0xb8b4, v6
	v_fmac_f16_e32 v7, 0x38b4, v6
	v_add_f16_e32 v6, v0, v2
	v_add_f16_e32 v23, v23, v24
	v_fmac_f16_e32 v28, 0xb8b4, v16
	v_fmac_f16_e32 v56, 0x38b4, v16
	v_add_f16_e32 v16, v4, v20
	v_add_f16_e32 v24, v29, v30
	v_fma_f16 v6, -0.5, v6, v22
	v_sub_f16_e32 v17, v57, v17
	v_fmac_f16_e32 v12, 0x34f2, v23
	v_fmac_f16_e32 v7, 0x34f2, v23
	v_add_f16_e32 v23, v22, v4
	v_sub_f16_e32 v5, v5, v14
	v_fmac_f16_e32 v22, -0.5, v16
	v_fmac_f16_e32 v28, 0x34f2, v24
	v_fmac_f16_e32 v56, 0x34f2, v24
	v_fmamk_f16 v14, v17, 0x3b9c, v6
	v_sub_f16_e32 v16, v4, v0
	v_sub_f16_e32 v24, v20, v2
	v_fmamk_f16 v29, v5, 0xbb9c, v22
	v_sub_f16_e32 v4, v0, v4
	v_sub_f16_e32 v30, v2, v20
	v_fmac_f16_e32 v22, 0x3b9c, v5
	v_fmac_f16_e32 v6, 0xbb9c, v17
	;; [unrolled: 1-line block ×3, first 2 shown]
	v_add_f16_e32 v16, v16, v24
	v_fmac_f16_e32 v29, 0x38b4, v17
	v_add_f16_e32 v4, v4, v30
	v_fmac_f16_e32 v22, 0xb8b4, v17
	v_fmac_f16_e32 v6, 0xb8b4, v5
	v_add_f16_e32 v0, v23, v0
	v_fmac_f16_e32 v14, 0x34f2, v16
	v_fmac_f16_e32 v29, 0x34f2, v4
	;; [unrolled: 1-line block ×4, first 2 shown]
	v_add_f16_e32 v0, v0, v2
	v_mul_f16_e32 v2, 0xb8b4, v14
	v_mul_f16_e32 v14, 0x3a79, v14
	;; [unrolled: 1-line block ×8, first 2 shown]
	v_add_f16_e32 v0, v0, v20
	v_fmac_f16_e32 v2, 0x3a79, v12
	v_fmac_f16_e32 v14, 0x38b4, v12
	;; [unrolled: 1-line block ×8, first 2 shown]
	v_add_f16_e32 v17, v3, v1
	v_add_f16_e32 v20, v13, v2
	;; [unrolled: 1-line block ×10, first 2 shown]
	v_sub_f16_e32 v1, v3, v1
	v_sub_f16_e32 v0, v18, v0
	;; [unrolled: 1-line block ×10, first 2 shown]
	v_pack_b32_f16 v7, v17, v7
	v_pack_b32_f16 v12, v20, v12
	;; [unrolled: 1-line block ×10, first 2 shown]
	ds_store_2addr_b32 v31, v7, v12 offset1:9
	ds_store_2addr_b32 v31, v15, v16 offset0:18 offset1:27
	ds_store_2addr_b32 v31, v17, v0 offset0:36 offset1:45
	;; [unrolled: 1-line block ×4, first 2 shown]
	global_wb scope:SCOPE_SE
	s_wait_dscnt 0x0
	s_barrier_signal -1
	s_barrier_wait -1
	global_inv scope:SCOPE_SE
	ds_load_2addr_b32 v[2:3], v31 offset1:9
	s_wait_dscnt 0x0
	v_lshrrev_b32_e32 v4, 16, v2
	s_delay_alu instid0(VALU_DEP_1) | instskip(NEXT) | instid1(VALU_DEP_1)
	v_mul_f16_e32 v0, v51, v4
	v_fmac_f16_e32 v0, v50, v2
	v_mul_f16_e32 v2, v51, v2
	s_delay_alu instid0(VALU_DEP_2) | instskip(NEXT) | instid1(VALU_DEP_2)
	v_cvt_f32_f16_e32 v0, v0
	v_fma_f16 v2, v50, v4, -v2
	s_delay_alu instid0(VALU_DEP_2) | instskip(NEXT) | instid1(VALU_DEP_2)
	v_cvt_f64_f32_e32 v[0:1], v0
	v_cvt_f32_f16_e32 v2, v2
	s_delay_alu instid0(VALU_DEP_1) | instskip(SKIP_1) | instid1(VALU_DEP_3)
	v_cvt_f64_f32_e32 v[4:5], v2
	s_wait_alu 0xfffe
	v_mul_f64_e32 v[6:7], s[10:11], v[0:1]
	ds_load_2addr_b32 v[0:1], v31 offset0:18 offset1:30
	v_mul_f64_e32 v[4:5], s[10:11], v[4:5]
	s_wait_dscnt 0x0
	v_lshrrev_b32_e32 v2, 16, v1
	s_delay_alu instid0(VALU_DEP_1) | instskip(NEXT) | instid1(VALU_DEP_1)
	v_mul_f16_e32 v11, v49, v2
	v_fmac_f16_e32 v11, v48, v1
	v_mul_f16_e32 v1, v49, v1
	s_delay_alu instid0(VALU_DEP_2) | instskip(NEXT) | instid1(VALU_DEP_2)
	v_cvt_f32_f16_e32 v11, v11
	v_fma_f16 v1, v48, v2, -v1
	v_and_or_b32 v6, 0x1ff, v7, v6
	v_lshrrev_b32_e32 v12, 8, v7
	v_bfe_u32 v13, v7, 20, 11
	s_delay_alu instid0(VALU_DEP_4) | instskip(NEXT) | instid1(VALU_DEP_4)
	v_cvt_f32_f16_e32 v1, v1
	v_cmp_ne_u32_e64 s0, 0, v6
	v_and_or_b32 v4, 0x1ff, v5, v4
	v_bfe_u32 v17, v5, 20, 11
	v_add_nc_u32_e32 v18, 0xfffffc10, v13
	s_wait_alu 0xf1ff
	v_cndmask_b32_e64 v6, 0, 1, s0
	s_delay_alu instid0(VALU_DEP_1) | instskip(SKIP_1) | instid1(VALU_DEP_2)
	v_and_or_b32 v6, 0xffe, v12, v6
	v_sub_nc_u32_e32 v12, 0x3f1, v13
	v_or_b32_e32 v14, 0x1000, v6
	s_delay_alu instid0(VALU_DEP_2) | instskip(SKIP_1) | instid1(VALU_DEP_2)
	v_med3_i32 v15, v12, 0, 13
	v_cvt_f64_f32_e32 v[11:12], v11
	v_lshrrev_b32_e32 v16, v15, v14
	s_delay_alu instid0(VALU_DEP_1) | instskip(NEXT) | instid1(VALU_DEP_1)
	v_lshlrev_b32_e32 v15, v15, v16
	v_cmp_ne_u32_e64 s0, v15, v14
	s_wait_alu 0xf1ff
	s_delay_alu instid0(VALU_DEP_1) | instskip(SKIP_2) | instid1(VALU_DEP_3)
	v_cndmask_b32_e64 v14, 0, 1, s0
	v_cmp_ne_u32_e64 s0, 0, v4
	v_lshrrev_b32_e32 v4, 8, v5
	v_or_b32_e32 v15, v16, v14
	s_wait_alu 0xf1ff
	s_delay_alu instid0(VALU_DEP_3) | instskip(SKIP_2) | instid1(VALU_DEP_3)
	v_cndmask_b32_e64 v2, 0, 1, s0
	v_cmp_gt_i32_e64 s0, 1, v18
	v_cvt_f64_f32_e32 v[13:14], v1
	v_and_or_b32 v19, 0xffe, v4, v2
	v_sub_nc_u32_e32 v2, 0x3f1, v17
	v_lshl_or_b32 v4, v18, 12, v6
	s_delay_alu instid0(VALU_DEP_3) | instskip(NEXT) | instid1(VALU_DEP_3)
	v_or_b32_e32 v20, 0x1000, v19
	v_med3_i32 v1, v2, 0, 13
	s_wait_alu 0xf1ff
	s_delay_alu instid0(VALU_DEP_3) | instskip(SKIP_3) | instid1(VALU_DEP_3)
	v_cndmask_b32_e64 v21, v4, v15, s0
	v_mad_co_u64_u32 v[15:16], null, s6, v10, 0
	v_mul_f64_e32 v[11:12], s[10:11], v[11:12]
	v_lshrrev_b32_e32 v22, v1, v20
	v_dual_mov_b32 v4, v16 :: v_dual_and_b32 v23, 7, v21
	s_delay_alu instid0(VALU_DEP_2)
	v_lshlrev_b32_e32 v24, v1, v22
	ds_load_2addr_b32 v[1:2], v31 offset0:60 offset1:69
	v_cmp_lt_i32_e64 s0, 5, v23
	v_cmp_eq_u32_e64 s1, 3, v23
	v_add_nc_u32_e32 v23, 0xfffffc10, v17
	v_mad_co_u64_u32 v[16:17], null, s7, v10, v[4:5]
	v_lshrrev_b32_e32 v4, 2, v21
	v_cmp_ne_u32_e64 s2, v24, v20
	s_or_b32 s0, s1, s0
	v_lshl_or_b32 v17, v23, 12, v19
	v_lshrrev_b32_e32 v5, 16, v5
	s_wait_alu 0xfffe
	v_add_co_ci_u32_e64 v4, s0, 0, v4, s0
	v_cndmask_b32_e64 v20, 0, 1, s2
	v_cmp_ne_u32_e64 s0, 0, v6
	v_mul_f64_e32 v[13:14], s[10:11], v[13:14]
	s_delay_alu instid0(VALU_DEP_3) | instskip(SKIP_1) | instid1(VALU_DEP_3)
	v_or_b32_e32 v10, v22, v20
	s_wait_alu 0xf1ff
	v_cndmask_b32_e64 v6, 0, 1, s0
	v_cmp_gt_i32_e64 s0, 1, v23
	s_delay_alu instid0(VALU_DEP_2) | instskip(SKIP_1) | instid1(VALU_DEP_2)
	v_lshl_or_b32 v6, v6, 9, 0x7c00
	s_wait_alu 0xf1ff
	v_cndmask_b32_e64 v10, v17, v10, s0
	s_wait_dscnt 0x0
	v_lshrrev_b32_e32 v17, 16, v1
	v_cmp_gt_i32_e64 s0, 31, v18
	s_delay_alu instid0(VALU_DEP_3) | instskip(NEXT) | instid1(VALU_DEP_3)
	v_and_b32_e32 v21, 7, v10
	v_mul_f16_e32 v20, v47, v17
	s_wait_alu 0xf1ff
	s_delay_alu instid0(VALU_DEP_3)
	v_cndmask_b32_e64 v4, 0x7c00, v4, s0
	v_cmp_eq_u32_e64 s0, 0x40f, v18
	v_lshrrev_b32_e32 v18, 16, v7
	v_cmp_eq_u32_e64 s1, 3, v21
	v_fmac_f16_e32 v20, v46, v1
	v_mul_f16_e32 v1, v47, v1
	s_wait_alu 0xf1ff
	v_cndmask_b32_e64 v4, v4, v6, s0
	v_cmp_lt_i32_e64 s0, 5, v21
	v_lshrrev_b32_e32 v6, 2, v10
	v_cvt_f32_f16_e32 v7, v20
	v_and_or_b32 v10, 0x1ff, v12, v11
	v_lshrrev_b32_e32 v20, 8, v12
	s_or_b32 s0, s1, s0
	v_bfe_u32 v21, v12, 20, 11
	s_wait_alu 0xfffe
	v_add_co_ci_u32_e64 v11, s0, 0, v6, s0
	v_cvt_f64_f32_e32 v[6:7], v7
	v_cmp_ne_u32_e64 s0, 0, v10
	s_wait_alu 0xf1ff
	s_delay_alu instid0(VALU_DEP_1) | instskip(SKIP_3) | instid1(VALU_DEP_4)
	v_cndmask_b32_e64 v10, 0, 1, s0
	v_cmp_ne_u32_e64 s0, 0, v19
	v_and_or_b32 v13, 0x1ff, v14, v13
	v_bfe_u32 v27, v14, 20, 11
	v_and_or_b32 v24, 0xffe, v20, v10
	s_wait_alu 0xf1ff
	v_cndmask_b32_e64 v19, 0, 1, s0
	v_cmp_gt_i32_e64 s0, 31, v23
	v_sub_nc_u32_e32 v20, 0x3f1, v21
	v_add_nc_u32_e32 v21, 0xfffffc10, v21
	v_or_b32_e32 v25, 0x1000, v24
	v_lshl_or_b32 v19, v19, 9, 0x7c00
	s_wait_alu 0xf1ff
	v_cndmask_b32_e64 v22, 0x7c00, v11, s0
	v_med3_i32 v20, v20, 0, 13
	v_cmp_eq_u32_e64 s0, 0x40f, v23
	v_mad_co_u64_u32 v[10:11], null, s4, v43, 0
	v_cmp_eq_u32_e64 s2, 0x40f, v21
	s_delay_alu instid0(VALU_DEP_4)
	v_lshrrev_b32_e32 v23, v20, v25
	s_wait_alu 0xf1ff
	v_cndmask_b32_e64 v19, v22, v19, s0
	v_and_or_b32 v22, 0x8000, v18, v4
	v_fma_f16 v4, v46, v17, -v1
	v_cmp_ne_u32_e64 s0, 0, v13
	v_mov_b32_e32 v1, v11
	v_and_or_b32 v26, 0x8000, v5, v19
	v_lshlrev_b32_e32 v5, v20, v23
	v_cvt_f32_f16_e32 v4, v4
	s_wait_alu 0xf1ff
	v_cndmask_b32_e64 v11, 0, 1, s0
	v_lshrrev_b32_e32 v13, 8, v14
	v_and_b32_e32 v22, 0xffff, v22
	v_cmp_ne_u32_e64 s0, v5, v25
	v_cvt_f64_f32_e32 v[17:18], v4
	v_mul_f64_e32 v[19:20], s[10:11], v[6:7]
	v_and_or_b32 v13, 0xffe, v13, v11
	v_sub_nc_u32_e32 v11, 0x3f1, v27
	s_wait_alu 0xf1ff
	v_cndmask_b32_e64 v25, 0, 1, s0
	v_mad_co_u64_u32 v[4:5], null, s5, v43, v[1:2]
	v_or_b32_e32 v7, 0x1000, v13
	v_lshl_or_b32 v5, v21, 12, v24
	s_delay_alu instid0(VALU_DEP_4) | instskip(SKIP_4) | instid1(VALU_DEP_4)
	v_or_b32_e32 v1, v23, v25
	v_med3_i32 v23, v11, 0, 13
	v_cmp_gt_i32_e64 s0, 1, v21
	v_lshl_or_b32 v26, v26, 16, v22
	v_dual_mov_b32 v11, v4 :: v_dual_add_nc_u32 v22, 0xfffffc10, v27
	v_lshrrev_b32_e32 v25, v23, v7
	s_wait_alu 0xf1ff
	v_cndmask_b32_e64 v1, v5, v1, s0
	v_lshlrev_b64_e32 v[5:6], 2, v[15:16]
	v_lshrrev_b32_e32 v14, 16, v14
	v_lshlrev_b64_e32 v[10:11], 2, v[10:11]
	v_lshlrev_b32_e32 v15, v23, v25
	v_and_b32_e32 v4, 7, v1
	v_lshrrev_b32_e32 v1, 2, v1
	v_add_co_u32 v5, s0, s8, v5
	s_delay_alu instid0(VALU_DEP_4)
	v_cmp_ne_u32_e64 s1, v15, v7
	s_wait_alu 0xf1ff
	v_add_co_ci_u32_e64 v6, s0, s9, v6, s0
	v_cmp_lt_i32_e64 s0, 5, v4
	v_lshl_or_b32 v23, v22, 12, v13
	v_cndmask_b32_e64 v7, 0, 1, s1
	v_cmp_eq_u32_e64 s1, 3, v4
	v_lshrrev_b32_e32 v4, 16, v3
	s_delay_alu instid0(VALU_DEP_3) | instskip(NEXT) | instid1(VALU_DEP_3)
	v_or_b32_e32 v7, v25, v7
	s_or_b32 s0, s1, s0
	s_wait_alu 0xfffe
	v_add_co_ci_u32_e64 v1, s0, 0, v1, s0
	v_cmp_gt_i32_e64 s0, 1, v22
	v_mul_f64_e32 v[15:16], s[10:11], v[17:18]
	v_and_or_b32 v18, 0x1ff, v20, v19
	v_mul_f16_e32 v17, v45, v4
	v_lshrrev_b32_e32 v25, 8, v20
	s_wait_alu 0xf1ff
	v_cndmask_b32_e64 v7, v23, v7, s0
	v_cmp_ne_u32_e64 s0, 0, v24
	v_bfe_u32 v27, v20, 20, 11
	v_fmac_f16_e32 v17, v44, v3
	v_mul_f16_e32 v3, v45, v3
	v_and_b32_e32 v23, 7, v7
	s_wait_alu 0xf1ff
	v_cndmask_b32_e64 v19, 0, 1, s0
	v_cmp_ne_u32_e64 s0, 0, v18
	v_cvt_f32_f16_e32 v17, v17
	v_lshrrev_b32_e32 v7, 2, v7
	v_cmp_eq_u32_e64 s1, 3, v23
	v_lshl_or_b32 v19, v19, 9, 0x7c00
	s_wait_alu 0xf1ff
	v_cndmask_b32_e64 v24, 0, 1, s0
	v_cmp_gt_i32_e64 s0, 31, v21
	v_cvt_f64_f32_e32 v[17:18], v17
	v_fma_f16 v3, v44, v4, -v3
	v_lshrrev_b32_e32 v20, 16, v20
	v_and_or_b32 v24, 0xffe, v25, v24
	v_sub_nc_u32_e32 v25, 0x3f1, v27
	s_wait_alu 0xf1ff
	v_cndmask_b32_e64 v1, 0x7c00, v1, s0
	v_cmp_lt_i32_e64 s0, 5, v23
	v_cvt_f32_f16_e32 v3, v3
	v_or_b32_e32 v23, 0x1000, v24
	v_med3_i32 v25, v25, 0, 13
	v_cndmask_b32_e64 v1, v1, v19, s2
	s_or_b32 s0, s1, s0
	v_lshrrev_b32_e32 v19, 16, v12
	s_wait_alu 0xfffe
	v_add_co_ci_u32_e64 v7, s0, 0, v7, s0
	v_lshrrev_b32_e32 v12, v25, v23
	v_cmp_ne_u32_e64 s0, 0, v13
	v_add_nc_u32_e32 v27, 0xfffffc10, v27
	v_and_or_b32 v1, 0x8000, v19, v1
	s_mul_u64 s[2:3], s[4:5], 30
	v_lshlrev_b32_e32 v21, v25, v12
	v_cndmask_b32_e64 v13, 0, 1, s0
	v_cmp_gt_i32_e64 s0, 31, v22
	v_and_or_b32 v15, 0x1ff, v16, v15
	v_and_b32_e32 v1, 0xffff, v1
	v_lshrrev_b32_e32 v29, 16, v16
	v_lshl_or_b32 v25, v13, 9, 0x7c00
	s_wait_alu 0xf1ff
	v_cndmask_b32_e64 v7, 0x7c00, v7, s0
	v_cmp_ne_u32_e64 s0, v21, v23
	v_bfe_u32 v21, v16, 20, 11
	s_wait_alu 0xfffe
	s_lshl_b64 s[12:13], s[2:3], 2
	s_delay_alu instid0(VALU_DEP_2) | instskip(SKIP_2) | instid1(VALU_DEP_3)
	v_cndmask_b32_e64 v13, 0, 1, s0
	v_cmp_ne_u32_e64 s0, 0, v15
	v_lshrrev_b32_e32 v15, 8, v16
	v_or_b32_e32 v23, v12, v13
	s_wait_alu 0xf1ff
	s_delay_alu instid0(VALU_DEP_3)
	v_cndmask_b32_e64 v4, 0, 1, s0
	v_cmp_eq_u32_e64 s0, 0x40f, v22
	v_mul_f64_e32 v[12:13], s[10:11], v[17:18]
	v_cvt_f64_f32_e32 v[17:18], v3
	v_lshl_or_b32 v3, v27, 12, v24
	v_and_or_b32 v28, 0xffe, v15, v4
	v_sub_nc_u32_e32 v4, 0x3f1, v21
	s_wait_alu 0xf1ff
	v_cndmask_b32_e64 v7, v7, v25, s0
	v_cmp_gt_i32_e64 s0, 1, v27
	v_or_b32_e32 v15, 0x1000, v28
	v_med3_i32 v4, v4, 0, 13
	s_delay_alu instid0(VALU_DEP_4)
	v_and_or_b32 v7, 0x8000, v14, v7
	s_wait_alu 0xf1ff
	v_cndmask_b32_e64 v22, v3, v23, s0
	v_add_co_u32 v10, s0, v5, v10
	v_lshrrev_b32_e32 v23, v4, v15
	s_wait_alu 0xf1ff
	v_add_co_ci_u32_e64 v11, s0, v6, v11, s0
	v_and_b32_e32 v14, 7, v22
	v_lshl_or_b32 v1, v7, 16, v1
	v_lshlrev_b32_e32 v19, v4, v23
	ds_load_2addr_b32 v[3:4], v31 offset0:39 offset1:48
	v_lshrrev_b32_e32 v7, 2, v22
	v_cmp_lt_i32_e64 s0, 5, v14
	v_cmp_ne_u32_e64 s1, v19, v15
	v_add_nc_u32_e32 v19, 0xfffffc10, v21
	s_wait_alu 0xf1ff
	s_delay_alu instid0(VALU_DEP_2) | instskip(SKIP_1) | instid1(VALU_DEP_2)
	v_cndmask_b32_e64 v15, 0, 1, s1
	v_cmp_eq_u32_e64 s1, 3, v14
	v_or_b32_e32 v14, v23, v15
	s_delay_alu instid0(VALU_DEP_2)
	s_or_b32 s0, s1, s0
	v_lshl_or_b32 v15, v19, 12, v28
	s_wait_alu 0xfffe
	v_add_co_ci_u32_e64 v7, s0, 0, v7, s0
	v_cmp_ne_u32_e64 s0, 0, v24
	v_and_or_b32 v12, 0x1ff, v13, v12
	s_wait_dscnt 0x0
	v_lshrrev_b32_e32 v23, 16, v3
	v_lshrrev_b32_e32 v24, 8, v13
	v_bfe_u32 v25, v13, 20, 11
	s_wait_alu 0xf1ff
	v_cndmask_b32_e64 v21, 0, 1, s0
	v_cmp_gt_i32_e64 s0, 1, v19
	s_wait_alu 0xf1ff
	s_delay_alu instid0(VALU_DEP_1)
	v_cndmask_b32_e64 v22, v15, v14, s0
	v_mul_f64_e32 v[14:15], s[10:11], v[17:18]
	v_cmp_gt_i32_e64 s0, 31, v27
	v_lshl_or_b32 v17, v21, 9, 0x7c00
	v_mul_f16_e32 v21, v42, v23
	v_and_b32_e32 v18, 7, v22
	v_lshrrev_b32_e32 v22, 2, v22
	s_wait_alu 0xf1ff
	v_cndmask_b32_e64 v7, 0x7c00, v7, s0
	v_cmp_ne_u32_e64 s0, 0, v12
	v_fmac_f16_e32 v21, v41, v3
	v_cmp_eq_u32_e64 s1, 3, v18
	v_mul_f16_e32 v3, v42, v3
	s_wait_alu 0xf1ff
	v_cndmask_b32_e64 v12, 0, 1, s0
	v_cmp_eq_u32_e64 s0, 0x40f, v27
	s_delay_alu instid0(VALU_DEP_3) | instskip(NEXT) | instid1(VALU_DEP_3)
	v_fma_f16 v3, v41, v23, -v3
	v_and_or_b32 v12, 0xffe, v24, v12
	s_wait_alu 0xf1ff
	s_delay_alu instid0(VALU_DEP_3)
	v_cndmask_b32_e64 v7, v7, v17, s0
	v_cmp_lt_i32_e64 s0, 5, v18
	v_cvt_f32_f16_e32 v17, v21
	v_sub_nc_u32_e32 v21, 0x3f1, v25
	v_or_b32_e32 v24, 0x1000, v12
	v_and_or_b32 v7, 0x8000, v20, v7
	s_or_b32 s0, s1, s0
	v_cvt_f64_f32_e32 v[17:18], v17
	s_wait_alu 0xfffe
	v_add_co_ci_u32_e64 v22, s0, 0, v22, s0
	v_med3_i32 v21, v21, 0, 13
	v_cmp_ne_u32_e64 s0, 0, v28
	v_cvt_f32_f16_e32 v3, v3
	v_and_b32_e32 v7, 0xffff, v7
	s_delay_alu instid0(VALU_DEP_4) | instskip(SKIP_3) | instid1(VALU_DEP_3)
	v_lshrrev_b32_e32 v28, v21, v24
	s_wait_alu 0xf1ff
	v_cndmask_b32_e64 v27, 0, 1, s0
	v_cmp_gt_i32_e64 s0, 31, v19
	v_lshlrev_b32_e32 v20, v21, v28
	s_delay_alu instid0(VALU_DEP_3) | instskip(SKIP_1) | instid1(VALU_DEP_3)
	v_lshl_or_b32 v27, v27, 9, 0x7c00
	s_wait_alu 0xf1ff
	v_cndmask_b32_e64 v22, 0x7c00, v22, s0
	v_cmp_eq_u32_e64 s0, 0x40f, v19
	v_and_or_b32 v14, 0x1ff, v15, v14
	v_lshrrev_b32_e32 v19, 8, v15
	s_wait_alu 0xf1ff
	s_delay_alu instid0(VALU_DEP_3) | instskip(SKIP_4) | instid1(VALU_DEP_3)
	v_cndmask_b32_e64 v27, v22, v27, s0
	v_cmp_ne_u32_e64 s0, v20, v24
	v_add_nc_u32_e32 v24, 0xfffffc10, v25
	v_bfe_u32 v25, v15, 20, 11
	s_wait_alu 0xf1ff
	v_cndmask_b32_e64 v16, 0, 1, s0
	v_cmp_ne_u32_e64 s0, 0, v14
	v_lshl_or_b32 v20, v24, 12, v12
	s_delay_alu instid0(VALU_DEP_3) | instskip(SKIP_1) | instid1(VALU_DEP_3)
	v_or_b32_e32 v16, v28, v16
	s_wait_alu 0xf1ff
	v_cndmask_b32_e64 v14, 0, 1, s0
	v_cmp_gt_i32_e64 s0, 1, v24
	s_delay_alu instid0(VALU_DEP_2) | instskip(SKIP_2) | instid1(VALU_DEP_3)
	v_and_or_b32 v14, 0xffe, v19, v14
	v_sub_nc_u32_e32 v19, 0x3f1, v25
	s_wait_alu 0xf1ff
	v_cndmask_b32_e64 v23, v20, v16, s0
	v_mul_f64_e32 v[16:17], s[10:11], v[17:18]
	v_add_co_u32 v21, s0, v10, s12
	v_or_b32_e32 v28, 0x1000, v14
	v_med3_i32 v30, v19, 0, 13
	v_cvt_f64_f32_e32 v[19:20], v3
	s_wait_alu 0xf1ff
	v_add_co_ci_u32_e64 v22, s0, s13, v11, s0
	v_and_or_b32 v3, 0x8000, v29, v27
	v_lshrrev_b32_e32 v18, v30, v28
	v_and_b32_e32 v27, 7, v23
	s_clause 0x1
	global_store_b32 v[10:11], v26, off
	global_store_b32 v[21:22], v1, off
	v_lshrrev_b32_e32 v10, 2, v23
	v_lshl_or_b32 v3, v3, 16, v7
	v_lshlrev_b32_e32 v1, v30, v18
	v_cmp_lt_i32_e64 s0, 5, v27
	v_cmp_eq_u32_e64 s1, 3, v27
	v_lshrrev_b32_e32 v7, 16, v2
	v_add_nc_u32_e32 v23, 0xfffffc10, v25
	v_cmp_ne_u32_e64 s2, v1, v28
	v_lshrrev_b32_e32 v27, 16, v13
	s_or_b32 s0, s1, s0
	v_mul_f16_e32 v11, v40, v7
	s_wait_alu 0xfffe
	v_add_co_ci_u32_e64 v10, s0, 0, v10, s0
	v_cndmask_b32_e64 v1, 0, 1, s2
	v_cmp_ne_u32_e64 s0, 0, v12
	v_fmac_f16_e32 v11, v39, v2
	v_mul_f16_e32 v2, v40, v2
	s_delay_alu instid0(VALU_DEP_4)
	v_or_b32_e32 v1, v18, v1
	v_lshl_or_b32 v18, v23, 12, v14
	s_wait_alu 0xf1ff
	v_cndmask_b32_e64 v12, 0, 1, s0
	v_cmp_gt_i32_e64 s0, 1, v23
	v_cvt_f32_f16_e32 v11, v11
	v_fma_f16 v2, v39, v7, -v2
	s_delay_alu instid0(VALU_DEP_4)
	v_lshl_or_b32 v12, v12, 9, 0x7c00
	s_wait_alu 0xf1ff
	v_cndmask_b32_e64 v1, v18, v1, s0
	v_cmp_gt_i32_e64 s0, 31, v24
	v_and_or_b32 v16, 0x1ff, v17, v16
	v_cvt_f32_f16_e32 v2, v2
	s_delay_alu instid0(VALU_DEP_4)
	v_and_b32_e32 v26, 7, v1
	s_wait_alu 0xf1ff
	v_cndmask_b32_e64 v25, 0x7c00, v10, s0
	v_cvt_f64_f32_e32 v[10:11], v11
	v_mul_f64_e32 v[18:19], s[10:11], v[19:20]
	v_cmp_eq_u32_e64 s0, 0x40f, v24
	v_cmp_eq_u32_e64 s1, 3, v26
	v_lshrrev_b32_e32 v1, 2, v1
	v_cmp_ne_u32_e64 s2, 0, v16
	v_lshrrev_b32_e32 v16, 8, v17
	s_wait_alu 0xf1ff
	v_cndmask_b32_e64 v20, v25, v12, s0
	v_cmp_lt_i32_e64 s0, 5, v26
	v_bfe_u32 v24, v17, 20, 11
	v_cndmask_b32_e64 v12, 0, 1, s2
	s_movk_i32 s2, 0xffcd
	v_and_or_b32 v20, 0x8000, v27, v20
	s_or_b32 s0, s1, s0
	s_mov_b32 s3, -1
	s_wait_alu 0xfffe
	v_add_co_ci_u32_e64 v1, s0, 0, v1, s0
	v_cmp_ne_u32_e64 s0, 0, v14
	v_and_or_b32 v16, 0xffe, v16, v12
	v_sub_nc_u32_e32 v12, 0x3f1, v24
	v_and_b32_e32 v20, 0xffff, v20
	s_wait_alu 0xf1ff
	v_cndmask_b32_e64 v14, 0, 1, s0
	v_cmp_gt_i32_e64 s0, 31, v23
	v_or_b32_e32 v25, 0x1000, v16
	v_med3_i32 v26, v12, 0, 13
	s_delay_alu instid0(VALU_DEP_4) | instskip(SKIP_4) | instid1(VALU_DEP_1)
	v_lshl_or_b32 v14, v14, 9, 0x7c00
	s_wait_alu 0xf1ff
	v_cndmask_b32_e64 v1, 0x7c00, v1, s0
	v_cmp_eq_u32_e64 s0, 0x40f, v23
	s_wait_alu 0xf1ff
	v_cndmask_b32_e64 v1, v1, v14, s0
	v_lshrrev_b32_e32 v14, 16, v15
	v_lshrrev_b32_e32 v15, v26, v25
	v_add_co_u32 v12, s0, v21, s12
	v_mul_f64_e32 v[10:11], s[10:11], v[10:11]
	s_delay_alu instid0(VALU_DEP_4) | instskip(NEXT) | instid1(VALU_DEP_4)
	v_and_or_b32 v14, 0x8000, v14, v1
	v_lshlrev_b32_e32 v1, v26, v15
	s_wait_alu 0xf1ff
	v_add_co_ci_u32_e64 v13, s0, s13, v22, s0
	v_and_or_b32 v18, 0x1ff, v19, v18
	v_lshrrev_b32_e32 v22, 8, v19
	v_cmp_ne_u32_e64 s0, v1, v25
	v_bfe_u32 v23, v19, 20, 11
	v_add_nc_u32_e32 v21, 0xfffffc10, v24
	global_store_b32 v[12:13], v3, off
	v_lshl_or_b32 v20, v14, 16, v20
	s_wait_alu 0xf1ff
	v_cndmask_b32_e64 v1, 0, 1, s0
	v_cmp_ne_u32_e64 s0, 0, v18
	v_lshl_or_b32 v7, v21, 12, v16
	v_lshrrev_b32_e32 v25, 16, v0
	v_lshrrev_b32_e32 v19, 16, v19
	v_or_b32_e32 v1, v15, v1
	s_wait_alu 0xf1ff
	v_cndmask_b32_e64 v18, 0, 1, s0
	v_sub_nc_u32_e32 v15, 0x3f1, v23
	v_cmp_gt_i32_e64 s0, 1, v21
	s_delay_alu instid0(VALU_DEP_3) | instskip(NEXT) | instid1(VALU_DEP_3)
	v_and_or_b32 v18, 0xffe, v22, v18
	v_med3_i32 v15, v15, 0, 13
	s_wait_alu 0xf1ff
	s_delay_alu instid0(VALU_DEP_3)
	v_cndmask_b32_e64 v7, v7, v1, s0
	v_cvt_f64_f32_e32 v[1:2], v2
	s_mul_u64 s[0:1], s[4:5], s[2:3]
	v_or_b32_e32 v22, 0x1000, v18
	s_wait_alu 0xfffe
	s_lshl_b64 s[6:7], s[0:1], 2
	v_and_b32_e32 v24, 7, v7
	v_lshrrev_b32_e32 v7, 2, v7
	v_lshrrev_b32_e32 v3, v15, v22
	s_delay_alu instid0(VALU_DEP_3) | instskip(SKIP_1) | instid1(VALU_DEP_3)
	v_cmp_lt_i32_e64 s0, 5, v24
	v_cmp_eq_u32_e64 s1, 3, v24
	v_lshlrev_b32_e32 v14, v15, v3
	v_mul_f16_e32 v15, v38, v25
	v_and_or_b32 v10, 0x1ff, v11, v10
	s_delay_alu instid0(VALU_DEP_4)
	s_or_b32 s0, s1, s0
	v_lshrrev_b32_e32 v24, 8, v11
	v_cmp_ne_u32_e64 s2, v14, v22
	s_wait_alu 0xfffe
	v_add_co_ci_u32_e64 v7, s0, 0, v7, s0
	v_add_nc_u32_e32 v22, 0xfffffc10, v23
	v_fmac_f16_e32 v15, v37, v0
	s_wait_alu 0xf1ff
	v_cndmask_b32_e64 v14, 0, 1, s2
	v_cmp_ne_u32_e64 s0, 0, v10
	v_bfe_u32 v26, v11, 20, 11
	v_lshl_or_b32 v23, v22, 12, v18
	v_cmp_eq_u32_e64 s2, 0x40f, v21
	v_or_b32_e32 v3, v3, v14
	v_cvt_f32_f16_e32 v14, v15
	s_wait_alu 0xf1ff
	v_cndmask_b32_e64 v10, 0, 1, s0
	v_cmp_gt_i32_e64 s0, 1, v22
	v_mul_f16_e32 v0, v38, v0
	v_cvt_f64_f32_e32 v[14:15], v14
	s_delay_alu instid0(VALU_DEP_4)
	v_and_or_b32 v10, 0xffe, v24, v10
	s_wait_alu 0xf1ff
	v_cndmask_b32_e64 v3, v23, v3, s0
	v_cmp_ne_u32_e64 s0, 0, v16
	v_sub_nc_u32_e32 v23, 0x3f1, v26
	v_mul_f64_e32 v[1:2], s[10:11], v[1:2]
	v_or_b32_e32 v27, 0x1000, v10
	v_and_b32_e32 v24, 7, v3
	s_wait_alu 0xf1ff
	v_cndmask_b32_e64 v16, 0, 1, s0
	v_cmp_gt_i32_e64 s0, 31, v21
	v_med3_i32 v23, v23, 0, 13
	v_lshrrev_b32_e32 v3, 2, v3
	v_cmp_eq_u32_e64 s1, 3, v24
	v_lshl_or_b32 v16, v16, 9, 0x7c00
	s_wait_alu 0xf1ff
	v_cndmask_b32_e64 v7, 0x7c00, v7, s0
	v_cmp_lt_i32_e64 s0, 5, v24
	v_lshrrev_b32_e32 v24, v23, v27
	v_lshrrev_b32_e32 v21, 16, v17
	v_fma_f16 v0, v37, v25, -v0
	v_cndmask_b32_e64 v7, v7, v16, s2
	s_or_b32 s0, s1, s0
	v_lshlrev_b32_e32 v16, v23, v24
	s_wait_alu 0xfffe
	v_add_co_ci_u32_e64 v3, s0, 0, v3, s0
	v_cmp_ne_u32_e64 s0, 0, v18
	v_add_nc_u32_e32 v23, 0xfffffc10, v26
	v_cvt_f32_f16_e32 v0, v0
	v_and_or_b32 v7, 0x8000, v21, v7
	s_wait_alu 0xf1ff
	v_cndmask_b32_e64 v17, 0, 1, s0
	v_cmp_ne_u32_e64 s0, v16, v27
	v_lshl_or_b32 v18, v23, 12, v10
	v_and_b32_e32 v7, 0xffff, v7
	s_wait_alu 0xf1ff
	s_delay_alu instid0(VALU_DEP_3) | instskip(SKIP_2) | instid1(VALU_DEP_3)
	v_cndmask_b32_e64 v16, 0, 1, s0
	v_cmp_gt_i32_e64 s0, 31, v22
	v_mul_f64_e32 v[14:15], s[10:11], v[14:15]
	v_or_b32_e32 v16, v24, v16
	s_wait_alu 0xf1ff
	s_delay_alu instid0(VALU_DEP_3) | instskip(SKIP_3) | instid1(VALU_DEP_2)
	v_cndmask_b32_e64 v3, 0x7c00, v3, s0
	v_cmp_gt_i32_e64 s0, 1, v23
	v_lshl_or_b32 v24, v17, 9, 0x7c00
	s_wait_alu 0xf1ff
	v_cndmask_b32_e64 v18, v18, v16, s0
	v_cvt_f64_f32_e32 v[16:17], v0
	v_cmp_eq_u32_e64 s0, 0x40f, v22
	v_and_or_b32 v22, 0x1ff, v2, v1
	s_delay_alu instid0(VALU_DEP_4) | instskip(SKIP_1) | instid1(VALU_DEP_3)
	v_and_b32_e32 v21, 7, v18
	s_wait_alu 0xf1ff
	v_cndmask_b32_e64 v3, v3, v24, s0
	s_delay_alu instid0(VALU_DEP_3)
	v_cmp_ne_u32_e64 s1, 0, v22
	v_add_co_u32 v0, s0, v12, s6
	s_wait_alu 0xf1ff
	v_add_co_ci_u32_e64 v1, s0, s7, v13, s0
	v_and_or_b32 v3, 0x8000, v19, v3
	v_cndmask_b32_e64 v12, 0, 1, s1
	v_lshrrev_b32_e32 v13, 8, v2
	v_bfe_u32 v19, v2, 20, 11
	v_cmp_lt_i32_e64 s0, 5, v21
	v_cmp_eq_u32_e64 s1, 3, v21
	v_lshl_or_b32 v3, v3, 16, v7
	v_lshrrev_b32_e32 v7, 2, v18
	v_and_or_b32 v21, 0xffe, v13, v12
	v_sub_nc_u32_e32 v12, 0x3f1, v19
	s_or_b32 s0, s1, s0
	v_lshrrev_b32_e32 v24, 16, v4
	s_wait_alu 0xfffe
	v_add_co_ci_u32_e64 v7, s0, 0, v7, s0
	v_med3_i32 v22, v12, 0, 13
	v_add_co_u32 v12, s0, v0, s12
	s_wait_alu 0xf1ff
	v_add_co_ci_u32_e64 v13, s0, s13, v1, s0
	v_or_b32_e32 v18, 0x1000, v21
	v_cmp_gt_i32_e64 s0, 31, v23
	v_and_or_b32 v14, 0x1ff, v15, v14
	v_mul_f16_e32 v26, v36, v24
	v_add_nc_u32_e32 v29, 0xfffffc10, v19
	v_lshrrev_b32_e32 v25, v22, v18
	s_wait_alu 0xf1ff
	v_cndmask_b32_e64 v7, 0x7c00, v7, s0
	v_mul_f64_e32 v[16:17], s[10:11], v[16:17]
	v_cmp_ne_u32_e64 s0, 0, v10
	v_fmac_f16_e32 v26, v35, v4
	v_lshlrev_b32_e32 v22, v22, v25
	v_lshrrev_b32_e32 v27, 8, v15
	v_bfe_u32 v28, v15, 20, 11
	s_wait_alu 0xf1ff
	v_cndmask_b32_e64 v10, 0, 1, s0
	v_cmp_ne_u32_e64 s0, 0, v14
	v_cvt_f32_f16_e32 v26, v26
	s_clause 0x1
	global_store_b32 v[0:1], v20, off
	global_store_b32 v[12:13], v3, off
	v_mul_f16_e32 v3, v36, v4
	v_lshl_or_b32 v10, v10, 9, 0x7c00
	s_wait_alu 0xf1ff
	v_cndmask_b32_e64 v14, 0, 1, s0
	v_cmp_ne_u32_e64 s0, v22, v18
	v_cvt_f64_f32_e32 v[18:19], v26
	v_sub_nc_u32_e32 v26, 0x3f1, v28
	v_fma_f16 v3, v35, v24, -v3
	v_and_or_b32 v14, 0xffe, v27, v14
	s_wait_alu 0xf1ff
	v_cndmask_b32_e64 v22, 0, 1, s0
	v_cmp_gt_i32_e64 s0, 1, v29
	v_med3_i32 v26, v26, 0, 13
	v_lshrrev_b32_e32 v2, 16, v2
	v_or_b32_e32 v27, 0x1000, v14
	v_or_b32_e32 v22, v25, v22
	v_lshl_or_b32 v25, v29, 12, v21
	v_lshrrev_b32_e32 v15, 16, v15
	s_wait_alu 0xf1ff
	s_delay_alu instid0(VALU_DEP_2) | instskip(SKIP_1) | instid1(VALU_DEP_2)
	v_cndmask_b32_e64 v22, v25, v22, s0
	v_cmp_eq_u32_e64 s0, 0x40f, v23
	v_and_b32_e32 v23, 7, v22
	s_wait_alu 0xf1ff
	s_delay_alu instid0(VALU_DEP_2)
	v_cndmask_b32_e64 v7, v7, v10, s0
	v_lshrrev_b32_e32 v10, 16, v11
	v_lshrrev_b32_e32 v11, v26, v27
	;; [unrolled: 1-line block ×3, first 2 shown]
	v_cmp_lt_i32_e64 s0, 5, v23
	v_cmp_eq_u32_e64 s1, 3, v23
	v_and_or_b32 v4, 0x1ff, v17, v16
	v_lshlrev_b32_e32 v0, v26, v11
	v_and_or_b32 v7, 0x8000, v10, v7
	v_add_nc_u32_e32 v10, 0xfffffc10, v28
	s_or_b32 s0, s1, s0
	v_lshrrev_b32_e32 v23, 8, v17
	s_wait_alu 0xfffe
	v_add_co_ci_u32_e64 v16, s0, 0, v1, s0
	v_cmp_ne_u32_e64 s2, v0, v27
	v_cmp_ne_u32_e64 s0, 0, v4
	v_lshl_or_b32 v20, v10, 12, v14
	v_bfe_u32 v24, v17, 20, 11
	v_and_b32_e32 v7, 0xffff, v7
	s_wait_alu 0xf1ff
	v_cndmask_b32_e64 v0, 0, 1, s2
	v_cndmask_b32_e64 v22, 0, 1, s0
	v_cmp_ne_u32_e64 s0, 0, v21
	v_lshrrev_b32_e32 v17, 16, v17
	s_delay_alu instid0(VALU_DEP_4)
	v_or_b32_e32 v11, v11, v0
	v_cvt_f32_f16_e32 v0, v3
	v_mul_f64_e32 v[3:4], s[10:11], v[18:19]
	s_wait_alu 0xf1ff
	v_cndmask_b32_e64 v18, 0, 1, s0
	v_cmp_gt_i32_e64 s0, 1, v10
	v_and_or_b32 v19, 0xffe, v23, v22
	v_cvt_f64_f32_e32 v[0:1], v0
	s_delay_alu instid0(VALU_DEP_4)
	v_lshl_or_b32 v18, v18, 9, 0x7c00
	s_wait_alu 0xf1ff
	v_cndmask_b32_e64 v11, v20, v11, s0
	v_cmp_gt_i32_e64 s0, 31, v29
	v_sub_nc_u32_e32 v20, 0x3f1, v24
	v_or_b32_e32 v22, 0x1000, v19
	s_delay_alu instid0(VALU_DEP_4)
	v_and_b32_e32 v21, 7, v11
	s_wait_alu 0xf1ff
	v_cndmask_b32_e64 v16, 0x7c00, v16, s0
	v_cmp_eq_u32_e64 s0, 0x40f, v29
	v_med3_i32 v20, v20, 0, 13
	v_cmp_eq_u32_e64 s1, 3, v21
	s_wait_alu 0xf1ff
	s_delay_alu instid0(VALU_DEP_3)
	v_cndmask_b32_e64 v16, v16, v18, s0
	v_cmp_lt_i32_e64 s0, 5, v21
	ds_load_b32 v18, v31 offset:312
	v_lshrrev_b32_e32 v23, v20, v22
	v_and_or_b32 v16, 0x8000, v2, v16
	v_lshrrev_b32_e32 v2, 2, v11
	s_or_b32 s0, s1, s0
	s_delay_alu instid0(VALU_DEP_3)
	v_lshlrev_b32_e32 v11, v20, v23
	v_add_nc_u32_e32 v20, 0xfffffc10, v24
	v_lshl_or_b32 v7, v16, 16, v7
	s_wait_alu 0xfffe
	v_add_co_ci_u32_e64 v2, s0, 0, v2, s0
	v_cmp_ne_u32_e64 s0, 0, v14
	s_wait_alu 0xf1ff
	s_delay_alu instid0(VALU_DEP_1)
	v_cndmask_b32_e64 v14, 0, 1, s0
	v_cmp_ne_u32_e64 s0, v11, v22
	v_lshl_or_b32 v22, v20, 12, v19
	v_and_or_b32 v3, 0x1ff, v4, v3
	s_wait_dscnt 0x0
	v_lshrrev_b32_e32 v21, 16, v18
	v_lshl_or_b32 v14, v14, 9, 0x7c00
	s_wait_alu 0xf1ff
	v_cndmask_b32_e64 v11, 0, 1, s0
	v_cmp_gt_i32_e64 s0, 31, v10
	v_mul_f64_e32 v[0:1], s[10:11], v[0:1]
	s_delay_alu instid0(VALU_DEP_3) | instskip(SKIP_1) | instid1(VALU_DEP_3)
	v_or_b32_e32 v11, v23, v11
	s_wait_alu 0xf1ff
	v_cndmask_b32_e64 v2, 0x7c00, v2, s0
	v_cmp_eq_u32_e64 s0, 0x40f, v10
	s_wait_alu 0xf1ff
	s_delay_alu instid0(VALU_DEP_1) | instskip(SKIP_3) | instid1(VALU_DEP_4)
	v_cndmask_b32_e64 v10, v2, v14, s0
	v_mul_f16_e32 v2, v34, v21
	v_cmp_gt_i32_e64 s0, 1, v20
	v_lshrrev_b32_e32 v14, 8, v4
	v_and_or_b32 v15, 0x8000, v15, v10
	s_delay_alu instid0(VALU_DEP_4)
	v_fmac_f16_e32 v2, v33, v18
	s_wait_alu 0xf1ff
	v_cndmask_b32_e64 v11, v22, v11, s0
	v_cmp_ne_u32_e64 s0, 0, v3
	v_bfe_u32 v22, v4, 20, 11
	v_mul_f16_e32 v18, v34, v18
	v_cvt_f32_f16_e32 v2, v2
	v_and_b32_e32 v23, 7, v11
	s_wait_alu 0xf1ff
	v_cndmask_b32_e64 v3, 0, 1, s0
	v_sub_nc_u32_e32 v24, 0x3f1, v22
	v_fma_f16 v18, v33, v21, -v18
	v_lshrrev_b32_e32 v10, 2, v11
	v_cmp_lt_i32_e64 s0, 5, v23
	v_and_or_b32 v14, 0xffe, v14, v3
	v_cvt_f64_f32_e32 v[2:3], v2
	v_cmp_eq_u32_e64 s1, 3, v23
	v_med3_i32 v24, v24, 0, 13
	v_cvt_f32_f16_e32 v11, v18
	v_or_b32_e32 v25, 0x1000, v14
	v_add_nc_u32_e32 v22, 0xfffffc10, v22
	s_or_b32 s0, s1, s0
	v_and_b32_e32 v15, 0xffff, v15
	s_wait_alu 0xfffe
	v_add_co_ci_u32_e64 v18, s0, 0, v10, s0
	v_lshrrev_b32_e32 v21, v24, v25
	v_cmp_ne_u32_e64 s0, 0, v19
	v_cvt_f64_f32_e32 v[10:11], v11
	v_and_or_b32 v0, 0x1ff, v1, v0
	v_lshrrev_b32_e32 v4, 16, v4
	v_lshlrev_b32_e32 v23, v24, v21
	s_wait_alu 0xf1ff
	v_cndmask_b32_e64 v19, 0, 1, s0
	v_cmp_gt_i32_e64 s0, 31, v20
	v_lshrrev_b32_e32 v24, 8, v1
	s_delay_alu instid0(VALU_DEP_3) | instskip(SKIP_1) | instid1(VALU_DEP_3)
	v_lshl_or_b32 v19, v19, 9, 0x7c00
	s_wait_alu 0xf1ff
	v_cndmask_b32_e64 v18, 0x7c00, v18, s0
	v_cmp_ne_u32_e64 s0, v23, v25
	v_bfe_u32 v25, v1, 20, 11
	v_lshrrev_b32_e32 v1, 16, v1
	s_wait_alu 0xf1ff
	s_delay_alu instid0(VALU_DEP_3) | instskip(SKIP_2) | instid1(VALU_DEP_1)
	v_cndmask_b32_e64 v23, 0, 1, s0
	v_cmp_ne_u32_e64 s0, 0, v0
	s_wait_alu 0xf1ff
	v_cndmask_b32_e64 v0, 0, 1, s0
	v_cmp_eq_u32_e64 s0, 0x40f, v20
	v_lshl_or_b32 v20, v22, 12, v14
	v_mul_f64_e32 v[2:3], s[10:11], v[2:3]
	s_delay_alu instid0(VALU_DEP_4)
	v_and_or_b32 v0, 0xffe, v24, v0
	s_wait_alu 0xf1ff
	v_cndmask_b32_e64 v18, v18, v19, s0
	v_or_b32_e32 v19, v21, v23
	v_cmp_gt_i32_e64 s0, 1, v22
	v_sub_nc_u32_e32 v21, 0x3f1, v25
	s_delay_alu instid0(VALU_DEP_4) | instskip(SKIP_1) | instid1(VALU_DEP_3)
	v_and_or_b32 v16, 0x8000, v17, v18
	s_wait_alu 0xf1ff
	v_cndmask_b32_e64 v19, v20, v19, s0
	v_or_b32_e32 v20, 0x1000, v0
	v_med3_i32 v21, v21, 0, 13
	v_add_co_u32 v12, s0, v12, s12
	s_delay_alu instid0(VALU_DEP_4)
	v_and_b32_e32 v17, 7, v19
	s_wait_alu 0xf1ff
	v_add_co_ci_u32_e64 v13, s0, s13, v13, s0
	v_lshrrev_b32_e32 v18, v21, v20
	v_lshl_or_b32 v23, v16, 16, v15
	v_cmp_lt_i32_e64 s0, 5, v17
	v_cmp_eq_u32_e64 s1, 3, v17
	v_lshrrev_b32_e32 v16, 2, v19
	v_lshlrev_b32_e32 v15, v21, v18
	v_mul_f64_e32 v[10:11], s[10:11], v[10:11]
	v_add_nc_u32_e32 v17, 0xfffffc10, v25
	s_or_b32 s0, s1, s0
	s_wait_alu 0xfffe
	v_add_co_ci_u32_e64 v16, s0, 0, v16, s0
	v_cmp_ne_u32_e64 s2, v15, v20
	v_cmp_ne_u32_e64 s0, 0, v14
	s_wait_alu 0xf1ff
	s_delay_alu instid0(VALU_DEP_2) | instskip(NEXT) | instid1(VALU_DEP_2)
	v_cndmask_b32_e64 v15, 0, 1, s2
	v_cndmask_b32_e64 v14, 0, 1, s0
	v_cmp_gt_i32_e64 s0, 31, v22
	v_and_or_b32 v2, 0x1ff, v3, v2
	s_delay_alu instid0(VALU_DEP_4)
	v_or_b32_e32 v15, v18, v15
	v_lshl_or_b32 v18, v17, 12, v0
	s_wait_alu 0xf1ff
	v_cndmask_b32_e64 v16, 0x7c00, v16, s0
	v_cmp_gt_i32_e64 s0, 1, v17
	v_lshl_or_b32 v19, v14, 9, 0x7c00
	v_cmp_ne_u32_e64 s2, 0, v2
	s_wait_alu 0xf1ff
	s_delay_alu instid0(VALU_DEP_3) | instskip(SKIP_3) | instid1(VALU_DEP_3)
	v_cndmask_b32_e64 v18, v18, v15, s0
	v_add_co_u32 v14, s0, v12, s6
	s_wait_alu 0xf1ff
	v_add_co_ci_u32_e64 v15, s0, s7, v13, s0
	v_and_b32_e32 v20, 7, v18
	v_cmp_eq_u32_e64 s0, 0x40f, v22
	v_cndmask_b32_e64 v2, 0, 1, s2
	s_delay_alu instid0(VALU_DEP_3) | instskip(SKIP_1) | instid1(VALU_DEP_3)
	v_cmp_eq_u32_e64 s1, 3, v20
	s_wait_alu 0xf1ff
	v_cndmask_b32_e64 v19, v16, v19, s0
	v_cmp_lt_i32_e64 s0, 5, v20
	v_lshrrev_b32_e32 v16, 2, v18
	v_lshrrev_b32_e32 v18, 8, v3
	v_bfe_u32 v20, v3, 20, 11
	v_and_or_b32 v10, 0x1ff, v11, v10
	s_or_b32 s0, s1, s0
	v_lshrrev_b32_e32 v22, 8, v11
	s_wait_alu 0xfffe
	v_add_co_ci_u32_e64 v16, s0, 0, v16, s0
	v_and_or_b32 v2, 0xffe, v18, v2
	v_sub_nc_u32_e32 v18, 0x3f1, v20
	v_cmp_ne_u32_e64 s0, 0, v0
	v_bfe_u32 v24, v11, 20, 11
	v_add_nc_u32_e32 v20, 0xfffffc10, v20
	v_or_b32_e32 v21, 0x1000, v2
	v_med3_i32 v18, v18, 0, 13
	s_wait_alu 0xf1ff
	v_cndmask_b32_e64 v0, 0, 1, s0
	v_cmp_ne_u32_e64 s0, 0, v10
	v_and_or_b32 v4, 0x8000, v4, v19
	v_lshl_or_b32 v19, v20, 12, v2
	v_lshrrev_b32_e32 v25, v18, v21
	v_lshl_or_b32 v0, v0, 9, 0x7c00
	s_wait_alu 0xf1ff
	v_cndmask_b32_e64 v10, 0, 1, s0
	v_cmp_gt_i32_e64 s0, 31, v17
	v_cmp_gt_i32_e64 s2, 31, v20
	v_lshlrev_b32_e32 v18, v18, v25
	v_lshrrev_b32_e32 v3, 16, v3
	v_and_or_b32 v10, 0xffe, v22, v10
	s_wait_alu 0xf1ff
	v_cndmask_b32_e64 v16, 0x7c00, v16, s0
	v_sub_nc_u32_e32 v22, 0x3f1, v24
	v_cmp_eq_u32_e64 s0, 0x40f, v17
	v_and_b32_e32 v4, 0xffff, v4
	v_or_b32_e32 v26, 0x1000, v10
	s_delay_alu instid0(VALU_DEP_4)
	v_med3_i32 v22, v22, 0, 13
	s_wait_alu 0xf1ff
	v_cndmask_b32_e64 v0, v16, v0, s0
	v_cmp_ne_u32_e64 s0, v18, v21
	v_mad_co_u64_u32 v[16:17], null, s4, v32, 0
	v_lshrrev_b32_e32 v21, v22, v26
	s_wait_alu 0xf1ff
	s_delay_alu instid0(VALU_DEP_3) | instskip(SKIP_1) | instid1(VALU_DEP_3)
	v_cndmask_b32_e64 v18, 0, 1, s0
	v_cmp_gt_i32_e64 s0, 1, v20
	v_lshlrev_b32_e32 v22, v22, v21
	s_delay_alu instid0(VALU_DEP_3) | instskip(SKIP_3) | instid1(VALU_DEP_3)
	v_or_b32_e32 v18, v25, v18
	v_and_or_b32 v25, 0x8000, v1, v0
	v_mov_b32_e32 v0, v17
	s_wait_alu 0xf1ff
	v_cndmask_b32_e64 v18, v19, v18, s0
	v_cmp_ne_u32_e64 s0, v22, v26
	v_add_nc_u32_e32 v19, 0xfffffc10, v24
	v_mad_co_u64_u32 v[0:1], null, s5, v32, v[0:1]
	s_delay_alu instid0(VALU_DEP_4)
	v_and_b32_e32 v1, 7, v18
	s_wait_alu 0xf1ff
	v_cndmask_b32_e64 v17, 0, 1, s0
	v_cmp_gt_i32_e64 s1, 1, v19
	v_lshl_or_b32 v4, v25, 16, v4
	v_cmp_lt_i32_e64 s0, 5, v1
	s_delay_alu instid0(VALU_DEP_4) | instskip(SKIP_2) | instid1(VALU_DEP_1)
	v_or_b32_e32 v17, v21, v17
	v_lshl_or_b32 v21, v19, 12, v10
	s_wait_alu 0xf1ff
	v_cndmask_b32_e64 v21, v21, v17, s1
	v_cmp_eq_u32_e64 s1, 3, v1
	v_mov_b32_e32 v17, v0
	v_lshrrev_b32_e32 v0, 2, v18
	s_delay_alu instid0(VALU_DEP_4) | instskip(NEXT) | instid1(VALU_DEP_4)
	v_and_b32_e32 v1, 7, v21
	s_or_b32 s0, s1, s0
	s_wait_alu 0xfffe
	s_delay_alu instid0(VALU_DEP_2) | instskip(SKIP_2) | instid1(VALU_DEP_3)
	v_add_co_ci_u32_e64 v0, s0, 0, v0, s0
	v_cmp_ne_u32_e64 s0, 0, v2
	v_cmp_eq_u32_e64 s1, 3, v1
	v_cndmask_b32_e64 v18, 0x7c00, v0, s2
	s_wait_alu 0xf1ff
	s_delay_alu instid0(VALU_DEP_3) | instskip(SKIP_2) | instid1(VALU_DEP_3)
	v_cndmask_b32_e64 v2, 0, 1, s0
	v_cmp_lt_i32_e64 s0, 5, v1
	v_lshrrev_b32_e32 v1, 2, v21
	v_lshl_or_b32 v2, v2, 9, 0x7c00
	s_delay_alu instid0(VALU_DEP_3) | instskip(SKIP_1) | instid1(VALU_DEP_2)
	s_or_b32 s0, s1, s0
	s_wait_alu 0xfffe
	v_add_co_ci_u32_e64 v21, s0, 0, v1, s0
	v_cmp_ne_u32_e64 s0, 0, v10
	v_mad_co_u64_u32 v[0:1], null, 0xf0, s4, v[14:15]
	s_wait_alu 0xf1ff
	s_delay_alu instid0(VALU_DEP_2) | instskip(SKIP_1) | instid1(VALU_DEP_2)
	v_cndmask_b32_e64 v10, 0, 1, s0
	v_cmp_gt_i32_e64 s0, 31, v19
	v_lshl_or_b32 v10, v10, 9, 0x7c00
	s_wait_alu 0xf1ff
	s_delay_alu instid0(VALU_DEP_2) | instskip(SKIP_2) | instid1(VALU_DEP_1)
	v_cndmask_b32_e64 v21, 0x7c00, v21, s0
	v_cmp_eq_u32_e64 s0, 0x40f, v20
	s_wait_alu 0xf1ff
	v_cndmask_b32_e64 v2, v18, v2, s0
	v_cmp_eq_u32_e64 s0, 0x40f, v19
	v_lshrrev_b32_e32 v19, 16, v11
	s_delay_alu instid0(VALU_DEP_3) | instskip(SKIP_3) | instid1(VALU_DEP_2)
	v_and_or_b32 v20, 0x8000, v3, v2
	v_lshlrev_b64_e32 v[2:3], 2, v[16:17]
	s_wait_alu 0xf1ff
	v_cndmask_b32_e64 v18, v21, v10, s0
	v_mad_co_u64_u32 v[10:11], null, 0xf0, s5, v[1:2]
	s_delay_alu instid0(VALU_DEP_2) | instskip(SKIP_4) | instid1(VALU_DEP_3)
	v_and_or_b32 v1, 0x8000, v19, v18
	v_and_b32_e32 v11, 0xffff, v20
	v_add_co_u32 v2, s0, v5, v2
	s_wait_alu 0xf1ff
	v_add_co_ci_u32_e64 v3, s0, v6, v3, s0
	v_lshl_or_b32 v5, v1, 16, v11
	v_mov_b32_e32 v1, v10
	global_store_b32 v[12:13], v7, off
	global_store_b32 v[14:15], v23, off
	;; [unrolled: 1-line block ×4, first 2 shown]
	s_and_b32 exec_lo, exec_lo, vcc_lo
	s_cbranch_execz .LBB0_23
; %bb.22:
	s_clause 0x2
	global_load_b32 v4, v[8:9], off offset:108
	global_load_b32 v5, v[8:9], off offset:228
	;; [unrolled: 1-line block ×3, first 2 shown]
	ds_load_2addr_b32 v[2:3], v31 offset0:27 offset1:57
	ds_load_b32 v6, v31 offset:348
	v_add_co_u32 v0, vcc_lo, v0, s6
	s_wait_alu 0xfffd
	v_add_co_ci_u32_e32 v1, vcc_lo, s7, v1, vcc_lo
	s_wait_dscnt 0x1
	v_lshrrev_b32_e32 v7, 16, v2
	v_lshrrev_b32_e32 v11, 16, v3
	s_wait_dscnt 0x0
	v_lshrrev_b32_e32 v13, 16, v6
	s_wait_loadcnt 0x2
	v_lshrrev_b32_e32 v9, 16, v4
	s_wait_loadcnt 0x1
	v_lshrrev_b32_e32 v12, 16, v5
	s_delay_alu instid0(VALU_DEP_2) | instskip(SKIP_1) | instid1(VALU_DEP_3)
	v_mul_f16_e32 v10, v7, v9
	v_mul_f16_e32 v9, v2, v9
	;; [unrolled: 1-line block ×3, first 2 shown]
	s_delay_alu instid0(VALU_DEP_3) | instskip(NEXT) | instid1(VALU_DEP_3)
	v_fmac_f16_e32 v10, v2, v4
	v_fma_f16 v2, v4, v7, -v9
	s_wait_loadcnt 0x0
	v_lshrrev_b32_e32 v7, 16, v8
	v_mul_f16_e32 v9, v3, v12
	v_fmac_f16_e32 v14, v3, v5
	v_cvt_f32_f16_e32 v4, v10
	v_cvt_f32_f16_e32 v10, v2
	v_mul_f16_e32 v12, v13, v7
	v_fma_f16 v9, v5, v11, -v9
	v_cvt_f32_f16_e32 v11, v14
	v_cvt_f64_f32_e32 v[2:3], v4
	v_cvt_f64_f32_e32 v[4:5], v10
	v_mul_f16_e32 v10, v6, v7
	v_fmac_f16_e32 v12, v6, v8
	v_cvt_f32_f16_e32 v9, v9
	v_cvt_f64_f32_e32 v[6:7], v11
	v_add_co_u32 v14, vcc_lo, v0, s12
	v_fma_f16 v10, v8, v13, -v10
	v_cvt_f32_f16_e32 v11, v12
	v_cvt_f64_f32_e32 v[8:9], v9
	s_wait_alu 0xfffd
	v_add_co_ci_u32_e32 v15, vcc_lo, s13, v1, vcc_lo
	v_cvt_f32_f16_e32 v12, v10
	v_cvt_f64_f32_e32 v[10:11], v11
	s_delay_alu instid0(VALU_DEP_2)
	v_cvt_f64_f32_e32 v[12:13], v12
	v_mul_f64_e32 v[2:3], s[10:11], v[2:3]
	v_mul_f64_e32 v[4:5], s[10:11], v[4:5]
	;; [unrolled: 1-line block ×6, first 2 shown]
	v_and_or_b32 v2, 0x1ff, v3, v2
	v_and_or_b32 v4, 0x1ff, v5, v4
	v_lshrrev_b32_e32 v16, 8, v3
	v_bfe_u32 v17, v3, 20, 11
	v_lshrrev_b32_e32 v18, 8, v5
	v_cmp_ne_u32_e32 vcc_lo, 0, v2
	v_and_or_b32 v6, 0x1ff, v7, v6
	v_bfe_u32 v19, v5, 20, 11
	v_lshrrev_b32_e32 v20, 8, v7
	v_bfe_u32 v21, v7, 20, 11
	s_wait_alu 0xfffd
	v_cndmask_b32_e64 v2, 0, 1, vcc_lo
	v_cmp_ne_u32_e32 vcc_lo, 0, v4
	v_and_or_b32 v8, 0x1ff, v9, v8
	v_bfe_u32 v23, v9, 20, 11
	v_and_or_b32 v10, 0x1ff, v11, v10
	v_and_or_b32 v2, 0xffe, v16, v2
	s_wait_alu 0xfffd
	v_cndmask_b32_e64 v4, 0, 1, vcc_lo
	v_cmp_ne_u32_e32 vcc_lo, 0, v6
	v_and_or_b32 v12, 0x1ff, v13, v12
	v_sub_nc_u32_e32 v28, 0x3f1, v17
	v_add_nc_u32_e32 v17, 0xfffffc10, v17
	v_sub_nc_u32_e32 v29, 0x3f1, v19
	s_wait_alu 0xfffd
	v_cndmask_b32_e64 v6, 0, 1, vcc_lo
	v_cmp_ne_u32_e32 vcc_lo, 0, v8
	v_and_or_b32 v4, 0xffe, v18, v4
	v_lshrrev_b32_e32 v22, 8, v9
	v_bfe_u32 v25, v11, 20, 11
	v_bfe_u32 v27, v13, 20, 11
	s_wait_alu 0xfffd
	v_cndmask_b32_e64 v8, 0, 1, vcc_lo
	v_cmp_ne_u32_e32 vcc_lo, 0, v10
	v_add_nc_u32_e32 v19, 0xfffffc10, v19
	v_sub_nc_u32_e32 v30, 0x3f1, v21
	v_sub_nc_u32_e32 v31, 0x3f1, v23
	v_med3_i32 v16, v28, 0, 13
	s_wait_alu 0xfffd
	v_cndmask_b32_e64 v10, 0, 1, vcc_lo
	v_cmp_ne_u32_e32 vcc_lo, 0, v12
	v_med3_i32 v18, v29, 0, 13
	v_and_or_b32 v6, 0xffe, v20, v6
	v_or_b32_e32 v28, 0x1000, v2
	v_lshl_or_b32 v29, v17, 12, v2
	s_wait_alu 0xfffd
	v_cndmask_b32_e64 v12, 0, 1, vcc_lo
	v_cmp_ne_u32_e32 vcc_lo, 0, v2
	v_lshrrev_b32_e32 v24, 8, v11
	v_lshrrev_b32_e32 v26, 8, v13
	v_add_nc_u32_e32 v21, 0xfffffc10, v21
	v_sub_nc_u32_e32 v32, 0x3f1, v25
	s_wait_alu 0xfffd
	v_cndmask_b32_e64 v2, 0, 1, vcc_lo
	v_cmp_ne_u32_e32 vcc_lo, 0, v4
	v_sub_nc_u32_e32 v33, 0x3f1, v27
	v_med3_i32 v20, v30, 0, 13
	v_and_or_b32 v8, 0xffe, v22, v8
	v_med3_i32 v22, v31, 0, 13
	v_or_b32_e32 v30, 0x1000, v4
	v_lshl_or_b32 v31, v19, 12, v4
	s_wait_alu 0xfffd
	v_cndmask_b32_e64 v4, 0, 1, vcc_lo
	v_cmp_ne_u32_e32 vcc_lo, 0, v6
	v_add_nc_u32_e32 v23, 0xfffffc10, v23
	v_and_or_b32 v10, 0xffe, v24, v10
	v_med3_i32 v24, v32, 0, 13
	v_and_or_b32 v12, 0xffe, v26, v12
	v_med3_i32 v26, v33, 0, 13
	v_or_b32_e32 v32, 0x1000, v6
	v_lshl_or_b32 v33, v21, 12, v6
	s_wait_alu 0xfffd
	v_cndmask_b32_e64 v6, 0, 1, vcc_lo
	v_cmp_ne_u32_e32 vcc_lo, 0, v8
	v_add_nc_u32_e32 v25, 0xfffffc10, v25
	v_or_b32_e32 v34, 0x1000, v8
	v_lshl_or_b32 v35, v23, 12, v8
	v_lshrrev_b32_e32 v40, v16, v28
	s_wait_alu 0xfffd
	v_cndmask_b32_e64 v8, 0, 1, vcc_lo
	v_cmp_ne_u32_e32 vcc_lo, 0, v10
	v_add_nc_u32_e32 v27, 0xfffffc10, v27
	v_or_b32_e32 v36, 0x1000, v10
	v_lshl_or_b32 v37, v25, 12, v10
	v_lshrrev_b32_e32 v41, v18, v30
	s_wait_alu 0xfffd
	v_cndmask_b32_e64 v10, 0, 1, vcc_lo
	v_cmp_ne_u32_e32 vcc_lo, 0, v12
	v_lshlrev_b32_e32 v16, v16, v40
	v_or_b32_e32 v38, 0x1000, v12
	v_lshl_or_b32 v39, v27, 12, v12
	v_lshrrev_b32_e32 v42, v20, v32
	s_wait_alu 0xfffd
	v_cndmask_b32_e64 v12, 0, 1, vcc_lo
	v_lshlrev_b32_e32 v18, v18, v41
	v_cmp_ne_u32_e32 vcc_lo, v16, v28
	v_lshrrev_b32_e32 v43, v22, v34
	v_lshlrev_b32_e32 v20, v20, v42
	v_lshrrev_b32_e32 v44, v24, v36
	v_lshrrev_b32_e32 v45, v26, v38
	s_wait_alu 0xfffd
	v_cndmask_b32_e64 v16, 0, 1, vcc_lo
	v_cmp_ne_u32_e32 vcc_lo, v18, v30
	v_lshlrev_b32_e32 v22, v22, v43
	v_lshlrev_b32_e32 v24, v24, v44
	;; [unrolled: 1-line block ×3, first 2 shown]
	v_or_b32_e32 v16, v40, v16
	s_wait_alu 0xfffd
	v_cndmask_b32_e64 v18, 0, 1, vcc_lo
	v_cmp_ne_u32_e32 vcc_lo, v20, v32
	v_lshl_or_b32 v2, v2, 9, 0x7c00
	v_lshl_or_b32 v4, v4, 9, 0x7c00
	;; [unrolled: 1-line block ×3, first 2 shown]
	v_or_b32_e32 v18, v41, v18
	s_wait_alu 0xfffd
	v_cndmask_b32_e64 v20, 0, 1, vcc_lo
	v_cmp_ne_u32_e32 vcc_lo, v22, v34
	v_lshl_or_b32 v8, v8, 9, 0x7c00
	v_lshl_or_b32 v10, v10, 9, 0x7c00
	v_lshrrev_b32_e32 v3, 16, v3
	v_or_b32_e32 v20, v42, v20
	s_wait_alu 0xfffd
	v_cndmask_b32_e64 v22, 0, 1, vcc_lo
	v_cmp_ne_u32_e32 vcc_lo, v24, v36
	v_lshrrev_b32_e32 v7, 16, v7
	v_lshrrev_b32_e32 v5, 16, v5
	;; [unrolled: 1-line block ×3, first 2 shown]
	v_or_b32_e32 v22, v43, v22
	s_wait_alu 0xfffd
	v_cndmask_b32_e64 v24, 0, 1, vcc_lo
	v_cmp_ne_u32_e32 vcc_lo, v26, v38
	v_lshl_or_b32 v12, v12, 9, 0x7c00
	v_lshrrev_b32_e32 v9, 16, v9
	v_lshrrev_b32_e32 v13, 16, v13
	v_or_b32_e32 v24, v44, v24
	s_wait_alu 0xfffd
	v_cndmask_b32_e64 v26, 0, 1, vcc_lo
	v_cmp_gt_i32_e32 vcc_lo, 1, v17
	s_delay_alu instid0(VALU_DEP_2) | instskip(SKIP_3) | instid1(VALU_DEP_2)
	v_or_b32_e32 v26, v45, v26
	s_wait_alu 0xfffd
	v_cndmask_b32_e32 v16, v29, v16, vcc_lo
	v_cmp_gt_i32_e32 vcc_lo, 1, v19
	v_and_b32_e32 v28, 7, v16
	s_wait_alu 0xfffd
	v_cndmask_b32_e32 v18, v31, v18, vcc_lo
	v_cmp_gt_i32_e32 vcc_lo, 1, v21
	v_lshrrev_b32_e32 v16, 2, v16
	v_cmp_eq_u32_e64 s0, 3, v28
	s_wait_alu 0xfffd
	v_cndmask_b32_e32 v20, v33, v20, vcc_lo
	v_cmp_gt_i32_e32 vcc_lo, 1, v23
	s_delay_alu instid0(VALU_DEP_2)
	v_and_b32_e32 v30, 7, v20
	s_wait_alu 0xfffd
	v_cndmask_b32_e32 v22, v35, v22, vcc_lo
	v_cmp_gt_i32_e32 vcc_lo, 1, v25
	v_lshrrev_b32_e32 v20, 2, v20
	v_cmp_lt_i32_e64 s3, 5, v30
	v_cmp_eq_u32_e64 s4, 3, v30
	s_wait_alu 0xfffd
	v_cndmask_b32_e32 v24, v37, v24, vcc_lo
	v_cmp_gt_i32_e32 vcc_lo, 1, v27
	s_delay_alu instid0(VALU_DEP_2)
	v_and_b32_e32 v32, 7, v24
	s_wait_alu 0xfffd
	v_cndmask_b32_e32 v26, v39, v26, vcc_lo
	v_cmp_lt_i32_e32 vcc_lo, 5, v28
	v_lshrrev_b32_e32 v24, 2, v24
	v_cmp_lt_i32_e64 s7, 5, v32
	v_cmp_eq_u32_e64 s8, 3, v32
	s_or_b32 vcc_lo, s0, vcc_lo
	s_wait_alu 0xfffe
	v_add_co_ci_u32_e32 v16, vcc_lo, 0, v16, vcc_lo
	v_and_b32_e32 v29, 7, v18
	v_lshrrev_b32_e32 v18, 2, v18
	s_delay_alu instid0(VALU_DEP_2) | instskip(SKIP_1) | instid1(VALU_DEP_1)
	v_cmp_lt_i32_e64 s1, 5, v29
	v_cmp_eq_u32_e64 s2, 3, v29
	s_or_b32 vcc_lo, s2, s1
	s_wait_alu 0xfffe
	v_add_co_ci_u32_e32 v18, vcc_lo, 0, v18, vcc_lo
	s_or_b32 vcc_lo, s4, s3
	s_wait_alu 0xfffe
	v_add_co_ci_u32_e32 v20, vcc_lo, 0, v20, vcc_lo
	v_and_b32_e32 v31, 7, v22
	v_lshrrev_b32_e32 v22, 2, v22
	s_delay_alu instid0(VALU_DEP_2) | instskip(SKIP_1) | instid1(VALU_DEP_1)
	v_cmp_lt_i32_e64 s5, 5, v31
	v_cmp_eq_u32_e64 s6, 3, v31
	s_or_b32 vcc_lo, s6, s5
	s_wait_alu 0xfffe
	v_add_co_ci_u32_e32 v22, vcc_lo, 0, v22, vcc_lo
	s_or_b32 vcc_lo, s8, s7
	s_wait_alu 0xfffe
	v_add_co_ci_u32_e32 v24, vcc_lo, 0, v24, vcc_lo
	v_and_b32_e32 v33, 7, v26
	v_lshrrev_b32_e32 v26, 2, v26
	s_delay_alu instid0(VALU_DEP_2) | instskip(SKIP_1) | instid1(VALU_DEP_1)
	v_cmp_lt_i32_e64 s9, 5, v33
	v_cmp_eq_u32_e64 s10, 3, v33
	s_or_b32 vcc_lo, s10, s9
	s_wait_alu 0xfffe
	v_add_co_ci_u32_e32 v26, vcc_lo, 0, v26, vcc_lo
	v_cmp_gt_i32_e32 vcc_lo, 31, v17
	s_wait_alu 0xfffd
	v_cndmask_b32_e32 v16, 0x7c00, v16, vcc_lo
	v_cmp_gt_i32_e32 vcc_lo, 31, v19
	s_wait_alu 0xfffd
	v_cndmask_b32_e32 v18, 0x7c00, v18, vcc_lo
	;; [unrolled: 3-line block ×6, first 2 shown]
	v_cmp_eq_u32_e32 vcc_lo, 0x40f, v17
	s_wait_alu 0xfffd
	v_cndmask_b32_e32 v2, v16, v2, vcc_lo
	v_cmp_eq_u32_e32 vcc_lo, 0x40f, v19
	s_delay_alu instid0(VALU_DEP_2) | instskip(SKIP_3) | instid1(VALU_DEP_2)
	v_and_or_b32 v2, 0x8000, v3, v2
	s_wait_alu 0xfffd
	v_cndmask_b32_e32 v4, v18, v4, vcc_lo
	v_cmp_eq_u32_e32 vcc_lo, 0x40f, v21
	v_and_or_b32 v4, 0x8000, v5, v4
	s_wait_alu 0xfffd
	v_cndmask_b32_e32 v6, v20, v6, vcc_lo
	v_cmp_eq_u32_e32 vcc_lo, 0x40f, v23
	s_delay_alu instid0(VALU_DEP_2) | instskip(SKIP_3) | instid1(VALU_DEP_2)
	v_and_or_b32 v3, 0x8000, v7, v6
	s_wait_alu 0xfffd
	v_cndmask_b32_e32 v8, v22, v8, vcc_lo
	v_cmp_eq_u32_e32 vcc_lo, 0x40f, v25
	v_and_or_b32 v6, 0x8000, v9, v8
	s_wait_alu 0xfffd
	v_cndmask_b32_e32 v10, v24, v10, vcc_lo
	v_cmp_eq_u32_e32 vcc_lo, 0x40f, v27
	v_and_b32_e32 v8, 0xffff, v2
	v_and_b32_e32 v9, 0xffff, v3
	s_delay_alu instid0(VALU_DEP_4)
	v_and_or_b32 v5, 0x8000, v11, v10
	s_wait_alu 0xfffd
	v_cndmask_b32_e32 v12, v26, v12, vcc_lo
	v_add_co_u32 v2, vcc_lo, v14, s12
	v_lshl_or_b32 v4, v4, 16, v8
	v_and_b32_e32 v5, 0xffff, v5
	s_delay_alu instid0(VALU_DEP_4) | instskip(SKIP_3) | instid1(VALU_DEP_3)
	v_and_or_b32 v7, 0x8000, v13, v12
	v_lshl_or_b32 v6, v6, 16, v9
	s_wait_alu 0xfffd
	v_add_co_ci_u32_e32 v3, vcc_lo, s13, v15, vcc_lo
	v_lshl_or_b32 v5, v7, 16, v5
	global_store_b32 v[0:1], v4, off
	global_store_b32 v[14:15], v6, off
	;; [unrolled: 1-line block ×3, first 2 shown]
.LBB0_23:
	s_nop 0
	s_sendmsg sendmsg(MSG_DEALLOC_VGPRS)
	s_endpgm
	.section	.rodata,"a",@progbits
	.p2align	6, 0x0
	.amdhsa_kernel bluestein_single_fwd_len90_dim1_half_op_CI_CI
		.amdhsa_group_segment_fixed_size 2520
		.amdhsa_private_segment_fixed_size 0
		.amdhsa_kernarg_size 104
		.amdhsa_user_sgpr_count 2
		.amdhsa_user_sgpr_dispatch_ptr 0
		.amdhsa_user_sgpr_queue_ptr 0
		.amdhsa_user_sgpr_kernarg_segment_ptr 1
		.amdhsa_user_sgpr_dispatch_id 0
		.amdhsa_user_sgpr_private_segment_size 0
		.amdhsa_wavefront_size32 1
		.amdhsa_uses_dynamic_stack 0
		.amdhsa_enable_private_segment 0
		.amdhsa_system_sgpr_workgroup_id_x 1
		.amdhsa_system_sgpr_workgroup_id_y 0
		.amdhsa_system_sgpr_workgroup_id_z 0
		.amdhsa_system_sgpr_workgroup_info 0
		.amdhsa_system_vgpr_workitem_id 0
		.amdhsa_next_free_vgpr 124
		.amdhsa_next_free_sgpr 18
		.amdhsa_reserve_vcc 1
		.amdhsa_float_round_mode_32 0
		.amdhsa_float_round_mode_16_64 0
		.amdhsa_float_denorm_mode_32 3
		.amdhsa_float_denorm_mode_16_64 3
		.amdhsa_fp16_overflow 0
		.amdhsa_workgroup_processor_mode 1
		.amdhsa_memory_ordered 1
		.amdhsa_forward_progress 0
		.amdhsa_round_robin_scheduling 0
		.amdhsa_exception_fp_ieee_invalid_op 0
		.amdhsa_exception_fp_denorm_src 0
		.amdhsa_exception_fp_ieee_div_zero 0
		.amdhsa_exception_fp_ieee_overflow 0
		.amdhsa_exception_fp_ieee_underflow 0
		.amdhsa_exception_fp_ieee_inexact 0
		.amdhsa_exception_int_div_zero 0
	.end_amdhsa_kernel
	.text
.Lfunc_end0:
	.size	bluestein_single_fwd_len90_dim1_half_op_CI_CI, .Lfunc_end0-bluestein_single_fwd_len90_dim1_half_op_CI_CI
                                        ; -- End function
	.section	.AMDGPU.csdata,"",@progbits
; Kernel info:
; codeLenInByte = 17080
; NumSgprs: 20
; NumVgprs: 124
; ScratchSize: 0
; MemoryBound: 0
; FloatMode: 240
; IeeeMode: 1
; LDSByteSize: 2520 bytes/workgroup (compile time only)
; SGPRBlocks: 2
; VGPRBlocks: 15
; NumSGPRsForWavesPerEU: 20
; NumVGPRsForWavesPerEU: 124
; Occupancy: 10
; WaveLimiterHint : 1
; COMPUTE_PGM_RSRC2:SCRATCH_EN: 0
; COMPUTE_PGM_RSRC2:USER_SGPR: 2
; COMPUTE_PGM_RSRC2:TRAP_HANDLER: 0
; COMPUTE_PGM_RSRC2:TGID_X_EN: 1
; COMPUTE_PGM_RSRC2:TGID_Y_EN: 0
; COMPUTE_PGM_RSRC2:TGID_Z_EN: 0
; COMPUTE_PGM_RSRC2:TIDIG_COMP_CNT: 0
	.text
	.p2alignl 7, 3214868480
	.fill 96, 4, 3214868480
	.type	__hip_cuid_e767a4159deed02b,@object ; @__hip_cuid_e767a4159deed02b
	.section	.bss,"aw",@nobits
	.globl	__hip_cuid_e767a4159deed02b
__hip_cuid_e767a4159deed02b:
	.byte	0                               ; 0x0
	.size	__hip_cuid_e767a4159deed02b, 1

	.ident	"AMD clang version 19.0.0git (https://github.com/RadeonOpenCompute/llvm-project roc-6.4.0 25133 c7fe45cf4b819c5991fe208aaa96edf142730f1d)"
	.section	".note.GNU-stack","",@progbits
	.addrsig
	.addrsig_sym __hip_cuid_e767a4159deed02b
	.amdgpu_metadata
---
amdhsa.kernels:
  - .args:
      - .actual_access:  read_only
        .address_space:  global
        .offset:         0
        .size:           8
        .value_kind:     global_buffer
      - .actual_access:  read_only
        .address_space:  global
        .offset:         8
        .size:           8
        .value_kind:     global_buffer
      - .actual_access:  read_only
        .address_space:  global
        .offset:         16
        .size:           8
        .value_kind:     global_buffer
      - .actual_access:  read_only
        .address_space:  global
        .offset:         24
        .size:           8
        .value_kind:     global_buffer
      - .actual_access:  read_only
        .address_space:  global
        .offset:         32
        .size:           8
        .value_kind:     global_buffer
      - .offset:         40
        .size:           8
        .value_kind:     by_value
      - .address_space:  global
        .offset:         48
        .size:           8
        .value_kind:     global_buffer
      - .address_space:  global
        .offset:         56
        .size:           8
        .value_kind:     global_buffer
      - .address_space:  global
        .offset:         64
        .size:           8
        .value_kind:     global_buffer
      - .address_space:  global
        .offset:         72
        .size:           8
        .value_kind:     global_buffer
      - .offset:         80
        .size:           4
        .value_kind:     by_value
      - .address_space:  global
        .offset:         88
        .size:           8
        .value_kind:     global_buffer
      - .address_space:  global
        .offset:         96
        .size:           8
        .value_kind:     global_buffer
    .group_segment_fixed_size: 2520
    .kernarg_segment_align: 8
    .kernarg_segment_size: 104
    .language:       OpenCL C
    .language_version:
      - 2
      - 0
    .max_flat_workgroup_size: 63
    .name:           bluestein_single_fwd_len90_dim1_half_op_CI_CI
    .private_segment_fixed_size: 0
    .sgpr_count:     20
    .sgpr_spill_count: 0
    .symbol:         bluestein_single_fwd_len90_dim1_half_op_CI_CI.kd
    .uniform_work_group_size: 1
    .uses_dynamic_stack: false
    .vgpr_count:     124
    .vgpr_spill_count: 0
    .wavefront_size: 32
    .workgroup_processor_mode: 1
amdhsa.target:   amdgcn-amd-amdhsa--gfx1201
amdhsa.version:
  - 1
  - 2
...

	.end_amdgpu_metadata
